;; amdgpu-corpus repo=ROCm/rocBLAS kind=compiled arch=gfx1201 opt=O3
	.amdgcn_target "amdgcn-amd-amdhsa--gfx1201"
	.amdhsa_code_object_version 6
	.section	.text._ZL20rocblas_tpmvn_kernelILi512EPKfPfS2_EvbbiT0_llT1_lllT2_li,"axG",@progbits,_ZL20rocblas_tpmvn_kernelILi512EPKfPfS2_EvbbiT0_llT1_lllT2_li,comdat
	.globl	_ZL20rocblas_tpmvn_kernelILi512EPKfPfS2_EvbbiT0_llT1_lllT2_li ; -- Begin function _ZL20rocblas_tpmvn_kernelILi512EPKfPfS2_EvbbiT0_llT1_lllT2_li
	.p2align	8
	.type	_ZL20rocblas_tpmvn_kernelILi512EPKfPfS2_EvbbiT0_llT1_lllT2_li,@function
_ZL20rocblas_tpmvn_kernelILi512EPKfPfS2_EvbbiT0_llT1_lllT2_li: ; @_ZL20rocblas_tpmvn_kernelILi512EPKfPfS2_EvbbiT0_llT1_lllT2_li
; %bb.0:
	s_load_b32 s33, s[0:1], 0x50
	s_lshr_b32 s20, ttmp7, 16
	s_wait_kmcnt 0x0
	s_cmp_ge_u32 s20, s33
	s_cbranch_scc1 .LBB0_21
; %bb.1:
	s_clause 0x4
	s_load_b32 s2, s[0:1], 0x0
	s_load_b64 s[22:23], s[0:1], 0x0
	s_load_b32 s3, s[0:1], 0x64
	s_load_b512 s[4:19], s[0:1], 0x8
	s_load_b64 s[24:25], s[0:1], 0x48
	v_mov_b32_e32 v24, 0
	s_wait_kmcnt 0x0
	s_bitcmp1_b32 s2, 0
	s_mov_b32 s26, s23
	s_cselect_b32 s2, -1, 0
	s_delay_alu instid0(SALU_CYCLE_1)
	s_xor_b32 s38, s2, -1
	s_bitcmp1_b32 s22, 8
	s_cselect_b32 s21, -1, 0
	s_and_b32 s0, s3, 0xffff
	s_lshl_b64 s[2:3], s[12:13], 2
	v_mad_co_u64_u32 v[0:1], null, ttmp9, s0, v[0:1]
	s_lshl_b64 s[0:1], s[6:7], 2
	s_add_nc_u64 s[6:7], s[10:11], s[2:3]
	s_xor_b32 s22, s21, -1
	s_wait_alu 0xfffe
	s_add_nc_u64 s[4:5], s[4:5], s[0:1]
	v_cndmask_b32_e64 v20, 0, 1, s22
	s_ashr_i32 s27, s23, 31
	v_ashrrev_i32_e32 v1, 31, v0
	v_add_co_u32 v3, vcc_lo, v0, -1
	v_add_nc_u32_e32 v2, 1, v0
	v_mad_co_i64_i32 v[10:11], null, v0, s23, 0
	s_delay_alu instid0(VALU_DEP_4) | instskip(NEXT) | instid1(VALU_DEP_4)
	v_add_co_ci_u32_e64 v5, null, -1, v1, vcc_lo
	v_mul_lo_u32 v6, v3, v1
	v_mad_co_u64_u32 v[12:13], null, v3, v0, 0
	s_delay_alu instid0(VALU_DEP_3) | instskip(SKIP_4) | instid1(VALU_DEP_4)
	v_mul_lo_u32 v5, v5, v0
	v_ashrrev_i32_e32 v3, 31, v2
	v_mul_lo_u32 v21, s15, v2
	v_mad_co_u64_u32 v[14:15], null, s14, v2, 0
	v_mad_co_i64_i32 v[16:17], null, v2, v0, 0
	v_mul_lo_u32 v22, s14, v3
	v_add3_u32 v13, v13, v6, v5
	v_lshlrev_b64_e32 v[6:7], 2, v[0:1]
	v_mul_lo_u32 v18, s15, v0
	v_mad_co_u64_u32 v[8:9], null, s14, v0, 0
	v_mul_lo_u32 v19, s14, v1
	v_lshrrev_b64 v[12:13], 1, v[12:13]
	v_add3_u32 v15, v15, v22, v21
	v_add_co_u32 v1, vcc_lo, s18, v6
	s_wait_alu 0xfffd
	v_add_co_ci_u32_e64 v21, null, s19, v7, vcc_lo
	s_delay_alu instid0(VALU_DEP_3)
	v_lshlrev_b64_e32 v[14:15], 2, v[14:15]
	v_sub_co_u32 v10, vcc_lo, v10, v12
	v_lshrrev_b64 v[16:17], 1, v[16:17]
	v_add3_u32 v9, v9, v19, v18
	s_wait_alu 0xfffd
	v_sub_co_ci_u32_e64 v11, null, v11, v13, vcc_lo
	v_add_nc_u32_e32 v4, 2, v0
	v_add_co_u32 v22, vcc_lo, s6, v14
	v_lshlrev_b64_e32 v[8:9], 2, v[8:9]
	s_delay_alu instid0(VALU_DEP_4)
	v_lshlrev_b64_e32 v[10:11], 2, v[10:11]
	v_lshlrev_b64_e32 v[12:13], 2, v[16:17]
	v_cmp_gt_i32_e64 s0, s23, v0
	v_cmp_lt_i32_e64 s1, 0, v0
	v_cmp_gt_i32_e64 s2, s23, v2
	v_ashrrev_i32_e32 v5, 31, v4
	s_wait_alu 0xfffd
	v_add_co_ci_u32_e64 v23, null, s7, v15, vcc_lo
	s_mov_b32 s21, 0
	s_lshl_b64 s[10:11], s[16:17], 2
	s_lshl_b64 s[12:13], s[14:15], 2
	s_branch .LBB0_5
.LBB0_2:                                ;   in Loop: Header=BB0_5 Depth=1
	s_or_b32 exec_lo, exec_lo, s28
	s_wait_loadcnt 0x0
	v_mov_b32_e32 v14, v25
.LBB0_3:                                ;   in Loop: Header=BB0_5 Depth=1
	s_mul_u64 s[14:15], s[24:25], s[20:21]
	s_wait_alu 0xfffe
	s_lshl_b64 s[14:15], s[14:15], 2
	s_wait_alu 0xfffe
	v_add_co_u32 v15, vcc_lo, v1, s14
	s_wait_alu 0xfffd
	v_add_co_ci_u32_e64 v16, null, s15, v21, vcc_lo
	global_store_b32 v[15:16], v14, off
.LBB0_4:                                ;   in Loop: Header=BB0_5 Depth=1
	s_or_b32 exec_lo, exec_lo, s39
	s_add_co_i32 s20, s20, 0x10000
	s_delay_alu instid0(SALU_CYCLE_1)
	s_cmp_lt_u32 s20, s33
	s_cbranch_scc0 .LBB0_21
.LBB0_5:                                ; =>This Loop Header: Depth=1
                                        ;     Child Loop BB0_11 Depth 2
                                        ;     Child Loop BB0_19 Depth 2
	s_and_saveexec_b32 s39, s0
	s_cbranch_execz .LBB0_4
; %bb.6:                                ;   in Loop: Header=BB0_5 Depth=1
	s_mul_u64 s[14:15], s[16:17], s[20:21]
	v_cmp_ne_u32_e64 s3, 1, v20
	s_wait_alu 0xfffe
	s_lshl_b64 s[14:15], s[14:15], 2
	s_mov_b32 s28, -1
	s_wait_alu 0xfffe
	s_add_nc_u64 s[14:15], s[6:7], s[14:15]
	s_wait_alu 0xfffe
	v_add_co_u32 v14, vcc_lo, s14, v8
	s_wait_alu 0xfffd
	v_add_co_ci_u32_e64 v15, null, s15, v9, vcc_lo
	s_mul_u64 s[14:15], s[8:9], s[20:21]
	s_and_b32 vcc_lo, exec_lo, s38
	s_wait_alu 0xfffe
	s_lshl_b64 s[18:19], s[14:15], 2
	s_wait_loadcnt 0x0
	global_load_b32 v25, v[14:15], off
	s_mul_u64 s[14:15], s[10:11], s[20:21]
	s_wait_alu 0xfffe
	s_add_nc_u64 s[18:19], s[4:5], s[18:19]
                                        ; implicit-def: $vgpr14
	s_cbranch_vccz .LBB0_14
; %bb.7:                                ;   in Loop: Header=BB0_5 Depth=1
	s_wait_loadcnt 0x0
	v_mov_b32_e32 v14, v25
	s_and_b32 vcc_lo, exec_lo, s3
	s_wait_alu 0xfffe
	s_cbranch_vccnz .LBB0_9
; %bb.8:                                ;   in Loop: Header=BB0_5 Depth=1
	v_add_co_u32 v14, vcc_lo, s18, v10
	s_wait_alu 0xfffd
	v_add_co_ci_u32_e64 v15, null, s19, v11, vcc_lo
	global_load_b32 v14, v[14:15], off
	s_wait_loadcnt 0x0
	v_mul_f32_e32 v14, v25, v14
.LBB0_9:                                ;   in Loop: Header=BB0_5 Depth=1
	s_and_saveexec_b32 s3, s1
	s_cbranch_execz .LBB0_13
; %bb.10:                               ;   in Loop: Header=BB0_5 Depth=1
	v_mov_b32_e32 v15, v0
	s_add_nc_u64 s[28:29], s[6:7], s[14:15]
	s_mov_b64 s[30:31], 0
	s_mov_b32 s40, 0
	s_mov_b64 s[36:37], 0
	s_mov_b64 s[34:35], 0
.LBB0_11:                               ;   Parent Loop BB0_5 Depth=1
                                        ; =>  This Inner Loop Header: Depth=2
	s_wait_alu 0xfffe
	v_add_co_u32 v16, s41, s34, v15
	s_wait_alu 0xf1ff
	v_add_co_ci_u32_e64 v17, null, s35, 0, s41
	s_lshr_b64 s[42:43], s[30:31], 1
	s_add_nc_u64 s[34:35], s[34:35], s[26:27]
	s_wait_alu 0xfffe
	v_sub_co_u32 v16, vcc_lo, v16, s42
	s_wait_alu 0xfffd
	v_subrev_co_ci_u32_e64 v17, null, s43, v17, vcc_lo
	s_add_nc_u64 s[42:43], s[36:37], 2
	s_add_nc_u64 s[30:31], s[30:31], s[36:37]
	s_wait_alu 0xfffe
	s_mov_b64 s[36:37], s[42:43]
	v_lshlrev_b64_e32 v[16:17], 2, v[16:17]
	s_delay_alu instid0(VALU_DEP_1) | instskip(SKIP_1) | instid1(VALU_DEP_2)
	v_add_co_u32 v16, vcc_lo, s18, v16
	s_wait_alu 0xfffd
	v_add_co_ci_u32_e64 v17, null, s19, v17, vcc_lo
	global_load_b32 v18, v24, s[28:29]
	global_load_b32 v16, v[16:17], off
	v_add_nc_u32_e32 v15, -1, v15
	s_add_nc_u64 s[28:29], s[28:29], s[12:13]
	s_wait_loadcnt 0x0
	v_fmac_f32_e32 v14, v16, v18
	s_delay_alu instid0(VALU_DEP_2)
	v_cmp_eq_u32_e32 vcc_lo, 0, v15
	s_or_b32 s40, vcc_lo, s40
	s_wait_alu 0xfffe
	s_and_not1_b32 exec_lo, exec_lo, s40
	s_cbranch_execnz .LBB0_11
; %bb.12:                               ;   in Loop: Header=BB0_5 Depth=1
	s_or_b32 exec_lo, exec_lo, s40
.LBB0_13:                               ;   in Loop: Header=BB0_5 Depth=1
	s_delay_alu instid0(SALU_CYCLE_1)
	s_or_b32 exec_lo, exec_lo, s3
	s_mov_b32 s28, 0
.LBB0_14:                               ;   in Loop: Header=BB0_5 Depth=1
	s_delay_alu instid0(SALU_CYCLE_1)
	s_and_b32 vcc_lo, exec_lo, s28
	s_wait_alu 0xfffe
	s_cbranch_vccz .LBB0_3
; %bb.15:                               ;   in Loop: Header=BB0_5 Depth=1
	s_and_not1_b32 vcc_lo, exec_lo, s22
	s_wait_alu 0xfffe
	s_cbranch_vccnz .LBB0_17
; %bb.16:                               ;   in Loop: Header=BB0_5 Depth=1
	v_add_co_u32 v14, vcc_lo, s18, v12
	s_wait_alu 0xfffd
	v_add_co_ci_u32_e64 v15, null, s19, v13, vcc_lo
	s_delay_alu instid0(VALU_DEP_2) | instskip(SKIP_1) | instid1(VALU_DEP_2)
	v_add_co_u32 v14, vcc_lo, v14, v6
	s_wait_alu 0xfffd
	v_add_co_ci_u32_e64 v15, null, v15, v7, vcc_lo
	global_load_b32 v14, v[14:15], off
	s_wait_loadcnt 0x0
	v_mul_f32_e32 v25, v25, v14
.LBB0_17:                               ;   in Loop: Header=BB0_5 Depth=1
	s_and_saveexec_b32 s28, s2
	s_cbranch_execz .LBB0_2
; %bb.18:                               ;   in Loop: Header=BB0_5 Depth=1
	v_add_co_u32 v26, vcc_lo, s18, v6
	s_wait_alu 0xfffd
	v_add_co_ci_u32_e64 v27, null, s19, v7, vcc_lo
	v_add_co_u32 v14, vcc_lo, v22, s14
	s_wait_alu 0xfffd
	v_add_co_ci_u32_e64 v15, null, s15, v23, vcc_lo
	v_dual_mov_b32 v19, v3 :: v_dual_mov_b32 v18, v2
	v_dual_mov_b32 v17, v5 :: v_dual_mov_b32 v16, v4
	s_mov_b32 s14, 0
.LBB0_19:                               ;   Parent Loop BB0_5 Depth=1
                                        ; =>  This Inner Loop Header: Depth=2
	s_delay_alu instid0(VALU_DEP_1) | instskip(NEXT) | instid1(VALU_DEP_2)
	v_mul_lo_u32 v30, v17, v18
	v_mul_lo_u32 v31, v16, v19
	v_mad_co_u64_u32 v[28:29], null, v16, v18, 0
	s_delay_alu instid0(VALU_DEP_1) | instskip(NEXT) | instid1(VALU_DEP_1)
	v_add3_u32 v29, v29, v31, v30
	v_lshlrev_b64_e32 v[28:29], 1, v[28:29]
	s_delay_alu instid0(VALU_DEP_1) | instskip(NEXT) | instid1(VALU_DEP_1)
	v_and_b32_e32 v28, -4, v28
	v_add_co_u32 v28, vcc_lo, v26, v28
	s_wait_alu 0xfffd
	s_delay_alu instid0(VALU_DEP_3)
	v_add_co_ci_u32_e64 v29, null, v27, v29, vcc_lo
	global_load_b32 v30, v[14:15], off
	global_load_b32 v28, v[28:29], off
	v_add_co_u32 v18, vcc_lo, v18, 1
	s_wait_alu 0xfffd
	v_add_co_ci_u32_e64 v19, null, 0, v19, vcc_lo
	v_add_co_u32 v16, vcc_lo, v16, 1
	s_wait_alu 0xfffd
	v_add_co_ci_u32_e64 v17, null, 0, v17, vcc_lo
	v_add_co_u32 v14, vcc_lo, v14, s12
	v_cmp_le_i32_e64 s3, s23, v18
	s_wait_alu 0xfffd
	v_add_co_ci_u32_e64 v15, null, s13, v15, vcc_lo
	s_wait_alu 0xfffe
	s_delay_alu instid0(VALU_DEP_2)
	s_or_b32 s14, s3, s14
	s_wait_loadcnt 0x0
	v_fmac_f32_e32 v25, v28, v30
	s_wait_alu 0xfffe
	s_and_not1_b32 exec_lo, exec_lo, s14
	s_cbranch_execnz .LBB0_19
; %bb.20:                               ;   in Loop: Header=BB0_5 Depth=1
	s_or_b32 exec_lo, exec_lo, s14
	s_branch .LBB0_2
.LBB0_21:
	s_endpgm
	.section	.rodata,"a",@progbits
	.p2align	6, 0x0
	.amdhsa_kernel _ZL20rocblas_tpmvn_kernelILi512EPKfPfS2_EvbbiT0_llT1_lllT2_li
		.amdhsa_group_segment_fixed_size 0
		.amdhsa_private_segment_fixed_size 0
		.amdhsa_kernarg_size 344
		.amdhsa_user_sgpr_count 2
		.amdhsa_user_sgpr_dispatch_ptr 0
		.amdhsa_user_sgpr_queue_ptr 0
		.amdhsa_user_sgpr_kernarg_segment_ptr 1
		.amdhsa_user_sgpr_dispatch_id 0
		.amdhsa_user_sgpr_private_segment_size 0
		.amdhsa_wavefront_size32 1
		.amdhsa_uses_dynamic_stack 0
		.amdhsa_enable_private_segment 0
		.amdhsa_system_sgpr_workgroup_id_x 1
		.amdhsa_system_sgpr_workgroup_id_y 0
		.amdhsa_system_sgpr_workgroup_id_z 1
		.amdhsa_system_sgpr_workgroup_info 0
		.amdhsa_system_vgpr_workitem_id 0
		.amdhsa_next_free_vgpr 32
		.amdhsa_next_free_sgpr 44
		.amdhsa_reserve_vcc 1
		.amdhsa_float_round_mode_32 0
		.amdhsa_float_round_mode_16_64 0
		.amdhsa_float_denorm_mode_32 3
		.amdhsa_float_denorm_mode_16_64 3
		.amdhsa_fp16_overflow 0
		.amdhsa_workgroup_processor_mode 1
		.amdhsa_memory_ordered 1
		.amdhsa_forward_progress 1
		.amdhsa_inst_pref_size 11
		.amdhsa_round_robin_scheduling 0
		.amdhsa_exception_fp_ieee_invalid_op 0
		.amdhsa_exception_fp_denorm_src 0
		.amdhsa_exception_fp_ieee_div_zero 0
		.amdhsa_exception_fp_ieee_overflow 0
		.amdhsa_exception_fp_ieee_underflow 0
		.amdhsa_exception_fp_ieee_inexact 0
		.amdhsa_exception_int_div_zero 0
	.end_amdhsa_kernel
	.section	.text._ZL20rocblas_tpmvn_kernelILi512EPKfPfS2_EvbbiT0_llT1_lllT2_li,"axG",@progbits,_ZL20rocblas_tpmvn_kernelILi512EPKfPfS2_EvbbiT0_llT1_lllT2_li,comdat
.Lfunc_end0:
	.size	_ZL20rocblas_tpmvn_kernelILi512EPKfPfS2_EvbbiT0_llT1_lllT2_li, .Lfunc_end0-_ZL20rocblas_tpmvn_kernelILi512EPKfPfS2_EvbbiT0_llT1_lllT2_li
                                        ; -- End function
	.set _ZL20rocblas_tpmvn_kernelILi512EPKfPfS2_EvbbiT0_llT1_lllT2_li.num_vgpr, 32
	.set _ZL20rocblas_tpmvn_kernelILi512EPKfPfS2_EvbbiT0_llT1_lllT2_li.num_agpr, 0
	.set _ZL20rocblas_tpmvn_kernelILi512EPKfPfS2_EvbbiT0_llT1_lllT2_li.numbered_sgpr, 44
	.set _ZL20rocblas_tpmvn_kernelILi512EPKfPfS2_EvbbiT0_llT1_lllT2_li.num_named_barrier, 0
	.set _ZL20rocblas_tpmvn_kernelILi512EPKfPfS2_EvbbiT0_llT1_lllT2_li.private_seg_size, 0
	.set _ZL20rocblas_tpmvn_kernelILi512EPKfPfS2_EvbbiT0_llT1_lllT2_li.uses_vcc, 1
	.set _ZL20rocblas_tpmvn_kernelILi512EPKfPfS2_EvbbiT0_llT1_lllT2_li.uses_flat_scratch, 0
	.set _ZL20rocblas_tpmvn_kernelILi512EPKfPfS2_EvbbiT0_llT1_lllT2_li.has_dyn_sized_stack, 0
	.set _ZL20rocblas_tpmvn_kernelILi512EPKfPfS2_EvbbiT0_llT1_lllT2_li.has_recursion, 0
	.set _ZL20rocblas_tpmvn_kernelILi512EPKfPfS2_EvbbiT0_llT1_lllT2_li.has_indirect_call, 0
	.section	.AMDGPU.csdata,"",@progbits
; Kernel info:
; codeLenInByte = 1296
; TotalNumSgprs: 46
; NumVgprs: 32
; ScratchSize: 0
; MemoryBound: 0
; FloatMode: 240
; IeeeMode: 1
; LDSByteSize: 0 bytes/workgroup (compile time only)
; SGPRBlocks: 0
; VGPRBlocks: 3
; NumSGPRsForWavesPerEU: 46
; NumVGPRsForWavesPerEU: 32
; Occupancy: 16
; WaveLimiterHint : 0
; COMPUTE_PGM_RSRC2:SCRATCH_EN: 0
; COMPUTE_PGM_RSRC2:USER_SGPR: 2
; COMPUTE_PGM_RSRC2:TRAP_HANDLER: 0
; COMPUTE_PGM_RSRC2:TGID_X_EN: 1
; COMPUTE_PGM_RSRC2:TGID_Y_EN: 0
; COMPUTE_PGM_RSRC2:TGID_Z_EN: 1
; COMPUTE_PGM_RSRC2:TIDIG_COMP_CNT: 0
	.section	.text._ZL20rocblas_tpmvt_kernelILi512EPKfPfS2_EvbbiT0_llT1_lllT2_li,"axG",@progbits,_ZL20rocblas_tpmvt_kernelILi512EPKfPfS2_EvbbiT0_llT1_lllT2_li,comdat
	.globl	_ZL20rocblas_tpmvt_kernelILi512EPKfPfS2_EvbbiT0_llT1_lllT2_li ; -- Begin function _ZL20rocblas_tpmvt_kernelILi512EPKfPfS2_EvbbiT0_llT1_lllT2_li
	.p2align	8
	.type	_ZL20rocblas_tpmvt_kernelILi512EPKfPfS2_EvbbiT0_llT1_lllT2_li,@function
_ZL20rocblas_tpmvt_kernelILi512EPKfPfS2_EvbbiT0_llT1_lllT2_li: ; @_ZL20rocblas_tpmvt_kernelILi512EPKfPfS2_EvbbiT0_llT1_lllT2_li
; %bb.0:
	s_load_b32 s30, s[0:1], 0x50
	s_lshr_b32 s20, ttmp7, 16
	s_wait_kmcnt 0x0
	s_cmp_ge_u32 s20, s30
	s_cbranch_scc1 .LBB1_21
; %bb.1:
	s_clause 0x4
	s_load_b32 s2, s[0:1], 0x0
	s_load_b64 s[22:23], s[0:1], 0x0
	s_load_b32 s3, s[0:1], 0x64
	s_load_b512 s[4:19], s[0:1], 0x8
	s_load_b64 s[24:25], s[0:1], 0x48
	s_mov_b32 s21, 0
	s_wait_kmcnt 0x0
	s_bitcmp1_b32 s2, 0
	s_cselect_b32 s0, -1, 0
	s_delay_alu instid0(SALU_CYCLE_1)
	s_xor_b32 s31, s0, -1
	s_bitcmp1_b32 s22, 8
	s_mov_b32 s0, s23
	s_cselect_b32 s22, -1, 0
	s_and_b32 s1, s3, 0xffff
	s_lshl_b64 s[12:13], s[12:13], 2
	v_mad_co_u64_u32 v[0:1], null, ttmp9, s1, v[0:1]
	s_ashr_i32 s1, s23, 31
	s_add_nc_u64 s[10:11], s[10:11], s[12:13]
	s_wait_alu 0xfffe
	s_lshl_b64 s[0:1], s[0:1], 2
	s_lshl_b64 s[2:3], s[6:7], 2
	s_wait_alu 0xfffe
	s_add_nc_u64 s[12:13], s[0:1], -4
	s_add_nc_u64 s[6:7], s[4:5], s[2:3]
	v_ashrrev_i32_e32 v1, 31, v0
	v_add_co_u32 v3, vcc_lo, v0, -1
	v_add_nc_u32_e32 v2, 1, v0
	v_mul_lo_u32 v21, s15, v0
	s_delay_alu instid0(VALU_DEP_4) | instskip(NEXT) | instid1(VALU_DEP_4)
	v_add_co_ci_u32_e64 v4, null, -1, v1, vcc_lo
	v_mul_lo_u32 v18, v3, v1
	s_delay_alu instid0(VALU_DEP_4) | instskip(SKIP_1) | instid1(VALU_DEP_4)
	v_mad_co_u64_u32 v[12:13], null, v2, v0, 0
	v_mad_co_u64_u32 v[14:15], null, v3, v0, 0
	v_mul_lo_u32 v19, v4, v0
	v_mad_co_u64_u32 v[6:7], null, s14, v0, 0
	v_mul_lo_u32 v23, s14, v1
	v_lshlrev_b64_e32 v[4:5], 2, v[0:1]
	v_mul_lo_u32 v26, s12, v1
	v_mad_co_i64_i32 v[8:9], null, v0, s23, 0
	v_add3_u32 v15, v15, v18, v19
	v_mad_co_u64_u32 v[18:19], null, v2, v1, v[13:14]
	v_mul_lo_u32 v22, s13, v0
	v_mad_co_u64_u32 v[10:11], null, s12, v0, s[2:3]
	s_delay_alu instid0(VALU_DEP_4)
	v_lshrrev_b64 v[14:15], 1, v[14:15]
	v_add3_u32 v7, v7, v23, v21
	s_xor_b32 s22, s22, -1
	v_mov_b32_e32 v13, v18
	v_ashrrev_i32_e32 v3, 31, v2
	v_mad_co_i64_i32 v[16:17], null, v2, v0, 0
	v_mul_lo_u32 v25, s15, v2
	v_mad_co_u64_u32 v[19:20], null, s14, v2, 0
	s_delay_alu instid0(VALU_DEP_4)
	v_mul_lo_u32 v1, s14, v3
	v_sub_co_u32 v8, vcc_lo, v8, v14
	v_lshrrev_b64 v[23:24], 1, v[16:17]
	v_lshlrev_b64_e32 v[16:17], 2, v[2:3]
	v_add3_u32 v11, v22, v11, v26
	s_wait_alu 0xfffd
	v_sub_co_ci_u32_e64 v9, null, v9, v15, vcc_lo
	v_add3_u32 v20, v20, v1, v25
	v_add_co_u32 v1, vcc_lo, s18, v4
	s_wait_alu 0xfffd
	v_add_co_ci_u32_e64 v3, null, s19, v5, vcc_lo
	s_delay_alu instid0(VALU_DEP_3)
	v_lshlrev_b64_e32 v[18:19], 2, v[19:20]
	v_add_co_u32 v20, vcc_lo, v10, v16
	s_wait_alu 0xfffd
	v_add_co_ci_u32_e64 v21, null, v11, v17, vcc_lo
	v_lshlrev_b64_e32 v[10:11], 2, v[14:15]
	v_lshlrev_b64_e32 v[12:13], 1, v[12:13]
	v_add_co_u32 v16, vcc_lo, s10, v18
	s_wait_alu 0xfffd
	v_add_co_ci_u32_e64 v17, null, s11, v19, vcc_lo
	s_delay_alu instid0(VALU_DEP_4) | instskip(SKIP_3) | instid1(VALU_DEP_3)
	v_sub_co_u32 v10, vcc_lo, v20, v10
	s_wait_alu 0xfffd
	v_sub_co_ci_u32_e64 v11, null, v21, v11, vcc_lo
	v_and_b32_e32 v12, -4, v12
	v_add_co_u32 v18, vcc_lo, s4, v10
	s_wait_alu 0xfffd
	s_delay_alu instid0(VALU_DEP_3)
	v_add_co_ci_u32_e64 v19, null, s5, v11, vcc_lo
	v_lshlrev_b64_e32 v[10:11], 2, v[23:24]
	v_mov_b32_e32 v23, 0
	v_add_co_u32 v20, vcc_lo, s6, v12
	v_lshlrev_b64_e32 v[6:7], 2, v[6:7]
	v_lshlrev_b64_e32 v[8:9], 2, v[8:9]
	v_cmp_gt_i32_e64 s0, s23, v0
	v_cmp_lt_i32_e64 s1, 0, v0
	v_cmp_gt_i32_e64 s2, s23, v2
	s_wait_alu 0xfffd
	v_add_co_ci_u32_e64 v21, null, s7, v13, vcc_lo
	s_wait_alu 0xfffe
	v_cndmask_b32_e64 v22, 0, 1, s22
	s_lshl_b64 s[4:5], s[16:17], 2
	s_lshl_b64 s[12:13], s[14:15], 2
	;; [unrolled: 1-line block ×3, first 2 shown]
	s_branch .LBB1_5
.LBB1_2:                                ;   in Loop: Header=BB1_5 Depth=1
	s_wait_alu 0xfffe
	s_or_b32 exec_lo, exec_lo, s28
	s_wait_loadcnt 0x0
	v_mov_b32_e32 v25, v24
.LBB1_3:                                ;   in Loop: Header=BB1_5 Depth=1
	s_mul_u64 s[18:19], s[24:25], s[20:21]
	s_wait_alu 0xfffe
	s_lshl_b64 s[18:19], s[18:19], 2
	s_wait_alu 0xfffe
	v_add_co_u32 v12, vcc_lo, v1, s18
	s_wait_alu 0xfffd
	v_add_co_ci_u32_e64 v13, null, s19, v3, vcc_lo
	global_store_b32 v[12:13], v25, off
.LBB1_4:                                ;   in Loop: Header=BB1_5 Depth=1
	s_or_b32 exec_lo, exec_lo, s33
	s_add_co_i32 s20, s20, 0x10000
	s_delay_alu instid0(SALU_CYCLE_1)
	s_cmp_lt_u32 s20, s30
	s_cbranch_scc0 .LBB1_21
.LBB1_5:                                ; =>This Loop Header: Depth=1
                                        ;     Child Loop BB1_11 Depth 2
                                        ;     Child Loop BB1_19 Depth 2
	s_and_saveexec_b32 s33, s0
	s_cbranch_execz .LBB1_4
; %bb.6:                                ;   in Loop: Header=BB1_5 Depth=1
	s_mul_u64 s[18:19], s[16:17], s[20:21]
	v_cmp_ne_u32_e64 s3, 1, v22
	s_wait_alu 0xfffe
	s_lshl_b64 s[18:19], s[18:19], 2
	s_mul_u64 s[26:27], s[14:15], s[20:21]
	s_wait_alu 0xfffe
	s_add_nc_u64 s[18:19], s[10:11], s[18:19]
	s_mov_b32 s34, -1
	s_wait_alu 0xfffe
	v_add_co_u32 v12, vcc_lo, s18, v6
	s_wait_alu 0xfffd
	v_add_co_ci_u32_e64 v13, null, s19, v7, vcc_lo
	s_mul_u64 s[18:19], s[8:9], s[20:21]
	s_and_b32 vcc_lo, exec_lo, s31
	s_wait_alu 0xfffe
	s_lshl_b64 s[28:29], s[18:19], 2
	s_wait_loadcnt 0x0
	global_load_b32 v24, v[12:13], off
	s_mul_u64 s[18:19], s[4:5], s[20:21]
	s_wait_alu 0xfffe
	s_add_nc_u64 s[28:29], s[6:7], s[28:29]
                                        ; implicit-def: $vgpr25
	s_cbranch_vccz .LBB1_14
; %bb.7:                                ;   in Loop: Header=BB1_5 Depth=1
	s_wait_loadcnt 0x0
	v_mov_b32_e32 v25, v24
	s_and_b32 vcc_lo, exec_lo, s3
	s_wait_alu 0xfffe
	s_cbranch_vccnz .LBB1_9
; %bb.8:                                ;   in Loop: Header=BB1_5 Depth=1
	v_add_co_u32 v12, vcc_lo, s28, v8
	s_wait_alu 0xfffd
	v_add_co_ci_u32_e64 v13, null, s29, v9, vcc_lo
	global_load_b32 v12, v[12:13], off
	s_wait_loadcnt 0x0
	v_mul_f32_e32 v25, v24, v12
.LBB1_9:                                ;   in Loop: Header=BB1_5 Depth=1
	s_and_saveexec_b32 s34, s2
	s_cbranch_execz .LBB1_13
; %bb.10:                               ;   in Loop: Header=BB1_5 Depth=1
	v_add_co_u32 v12, vcc_lo, v16, s18
	s_wait_alu 0xfffd
	v_add_co_ci_u32_e64 v13, null, s19, v17, vcc_lo
	v_add_co_u32 v14, vcc_lo, v18, s26
	s_wait_alu 0xfffd
	v_add_co_ci_u32_e64 v15, null, s27, v19, vcc_lo
	v_mov_b32_e32 v26, v2
	s_mov_b32 s35, 0
.LBB1_11:                               ;   Parent Loop BB1_5 Depth=1
                                        ; =>  This Inner Loop Header: Depth=2
	global_load_b32 v27, v[14:15], off
	global_load_b32 v28, v[12:13], off
	v_add_nc_u32_e32 v26, 1, v26
	v_add_co_u32 v12, vcc_lo, v12, s12
	s_wait_alu 0xfffd
	v_add_co_ci_u32_e64 v13, null, s13, v13, vcc_lo
	v_add_co_u32 v14, vcc_lo, v14, 4
	s_wait_alu 0xfffd
	v_add_co_ci_u32_e64 v15, null, 0, v15, vcc_lo
	s_wait_loadcnt 0x0
	v_fmac_f32_e32 v25, v27, v28
	v_cmp_le_i32_e64 s3, s23, v26
	s_or_b32 s35, s3, s35
	s_delay_alu instid0(SALU_CYCLE_1)
	s_and_not1_b32 exec_lo, exec_lo, s35
	s_cbranch_execnz .LBB1_11
; %bb.12:                               ;   in Loop: Header=BB1_5 Depth=1
	s_or_b32 exec_lo, exec_lo, s35
.LBB1_13:                               ;   in Loop: Header=BB1_5 Depth=1
	s_delay_alu instid0(SALU_CYCLE_1)
	s_or_b32 exec_lo, exec_lo, s34
	s_mov_b32 s34, 0
.LBB1_14:                               ;   in Loop: Header=BB1_5 Depth=1
	s_delay_alu instid0(SALU_CYCLE_1)
	s_and_b32 vcc_lo, exec_lo, s34
	s_wait_alu 0xfffe
	s_cbranch_vccz .LBB1_3
; %bb.15:                               ;   in Loop: Header=BB1_5 Depth=1
	s_and_not1_b32 vcc_lo, exec_lo, s22
	s_wait_alu 0xfffe
	s_cbranch_vccnz .LBB1_17
; %bb.16:                               ;   in Loop: Header=BB1_5 Depth=1
	v_add_co_u32 v12, vcc_lo, s28, v10
	s_wait_alu 0xfffd
	v_add_co_ci_u32_e64 v13, null, s29, v11, vcc_lo
	s_delay_alu instid0(VALU_DEP_2) | instskip(SKIP_1) | instid1(VALU_DEP_2)
	v_add_co_u32 v12, vcc_lo, v12, v4
	s_wait_alu 0xfffd
	v_add_co_ci_u32_e64 v13, null, v13, v5, vcc_lo
	global_load_b32 v12, v[12:13], off
	s_wait_loadcnt 0x0
	v_mul_f32_e32 v24, v24, v12
.LBB1_17:                               ;   in Loop: Header=BB1_5 Depth=1
	s_and_saveexec_b32 s28, s1
	s_cbranch_execz .LBB1_2
; %bb.18:                               ;   in Loop: Header=BB1_5 Depth=1
	v_add_co_u32 v12, vcc_lo, v20, s26
	s_wait_alu 0xfffd
	v_add_co_ci_u32_e64 v13, null, s27, v21, vcc_lo
	v_mov_b32_e32 v14, v0
	s_add_nc_u64 s[18:19], s[10:11], s[18:19]
	s_mov_b32 s26, 0
.LBB1_19:                               ;   Parent Loop BB1_5 Depth=1
                                        ; =>  This Inner Loop Header: Depth=2
	global_load_b32 v15, v[12:13], off
	global_load_b32 v25, v23, s[18:19]
	v_add_nc_u32_e32 v14, -1, v14
	v_add_co_u32 v12, vcc_lo, v12, 4
	s_wait_alu 0xfffd
	v_add_co_ci_u32_e64 v13, null, 0, v13, vcc_lo
	s_delay_alu instid0(VALU_DEP_3)
	v_cmp_eq_u32_e64 s3, 0, v14
	s_wait_alu 0xfffe
	s_add_nc_u64 s[18:19], s[18:19], s[12:13]
	s_or_b32 s26, s3, s26
	s_wait_loadcnt 0x0
	v_fmac_f32_e32 v24, v15, v25
	s_wait_alu 0xfffe
	s_and_not1_b32 exec_lo, exec_lo, s26
	s_cbranch_execnz .LBB1_19
; %bb.20:                               ;   in Loop: Header=BB1_5 Depth=1
	s_or_b32 exec_lo, exec_lo, s26
	s_branch .LBB1_2
.LBB1_21:
	s_endpgm
	.section	.rodata,"a",@progbits
	.p2align	6, 0x0
	.amdhsa_kernel _ZL20rocblas_tpmvt_kernelILi512EPKfPfS2_EvbbiT0_llT1_lllT2_li
		.amdhsa_group_segment_fixed_size 0
		.amdhsa_private_segment_fixed_size 0
		.amdhsa_kernarg_size 344
		.amdhsa_user_sgpr_count 2
		.amdhsa_user_sgpr_dispatch_ptr 0
		.amdhsa_user_sgpr_queue_ptr 0
		.amdhsa_user_sgpr_kernarg_segment_ptr 1
		.amdhsa_user_sgpr_dispatch_id 0
		.amdhsa_user_sgpr_private_segment_size 0
		.amdhsa_wavefront_size32 1
		.amdhsa_uses_dynamic_stack 0
		.amdhsa_enable_private_segment 0
		.amdhsa_system_sgpr_workgroup_id_x 1
		.amdhsa_system_sgpr_workgroup_id_y 0
		.amdhsa_system_sgpr_workgroup_id_z 1
		.amdhsa_system_sgpr_workgroup_info 0
		.amdhsa_system_vgpr_workitem_id 0
		.amdhsa_next_free_vgpr 29
		.amdhsa_next_free_sgpr 36
		.amdhsa_reserve_vcc 1
		.amdhsa_float_round_mode_32 0
		.amdhsa_float_round_mode_16_64 0
		.amdhsa_float_denorm_mode_32 3
		.amdhsa_float_denorm_mode_16_64 3
		.amdhsa_fp16_overflow 0
		.amdhsa_workgroup_processor_mode 1
		.amdhsa_memory_ordered 1
		.amdhsa_forward_progress 1
		.amdhsa_inst_pref_size 11
		.amdhsa_round_robin_scheduling 0
		.amdhsa_exception_fp_ieee_invalid_op 0
		.amdhsa_exception_fp_denorm_src 0
		.amdhsa_exception_fp_ieee_div_zero 0
		.amdhsa_exception_fp_ieee_overflow 0
		.amdhsa_exception_fp_ieee_underflow 0
		.amdhsa_exception_fp_ieee_inexact 0
		.amdhsa_exception_int_div_zero 0
	.end_amdhsa_kernel
	.section	.text._ZL20rocblas_tpmvt_kernelILi512EPKfPfS2_EvbbiT0_llT1_lllT2_li,"axG",@progbits,_ZL20rocblas_tpmvt_kernelILi512EPKfPfS2_EvbbiT0_llT1_lllT2_li,comdat
.Lfunc_end1:
	.size	_ZL20rocblas_tpmvt_kernelILi512EPKfPfS2_EvbbiT0_llT1_lllT2_li, .Lfunc_end1-_ZL20rocblas_tpmvt_kernelILi512EPKfPfS2_EvbbiT0_llT1_lllT2_li
                                        ; -- End function
	.set _ZL20rocblas_tpmvt_kernelILi512EPKfPfS2_EvbbiT0_llT1_lllT2_li.num_vgpr, 29
	.set _ZL20rocblas_tpmvt_kernelILi512EPKfPfS2_EvbbiT0_llT1_lllT2_li.num_agpr, 0
	.set _ZL20rocblas_tpmvt_kernelILi512EPKfPfS2_EvbbiT0_llT1_lllT2_li.numbered_sgpr, 36
	.set _ZL20rocblas_tpmvt_kernelILi512EPKfPfS2_EvbbiT0_llT1_lllT2_li.num_named_barrier, 0
	.set _ZL20rocblas_tpmvt_kernelILi512EPKfPfS2_EvbbiT0_llT1_lllT2_li.private_seg_size, 0
	.set _ZL20rocblas_tpmvt_kernelILi512EPKfPfS2_EvbbiT0_llT1_lllT2_li.uses_vcc, 1
	.set _ZL20rocblas_tpmvt_kernelILi512EPKfPfS2_EvbbiT0_llT1_lllT2_li.uses_flat_scratch, 0
	.set _ZL20rocblas_tpmvt_kernelILi512EPKfPfS2_EvbbiT0_llT1_lllT2_li.has_dyn_sized_stack, 0
	.set _ZL20rocblas_tpmvt_kernelILi512EPKfPfS2_EvbbiT0_llT1_lllT2_li.has_recursion, 0
	.set _ZL20rocblas_tpmvt_kernelILi512EPKfPfS2_EvbbiT0_llT1_lllT2_li.has_indirect_call, 0
	.section	.AMDGPU.csdata,"",@progbits
; Kernel info:
; codeLenInByte = 1300
; TotalNumSgprs: 38
; NumVgprs: 29
; ScratchSize: 0
; MemoryBound: 0
; FloatMode: 240
; IeeeMode: 1
; LDSByteSize: 0 bytes/workgroup (compile time only)
; SGPRBlocks: 0
; VGPRBlocks: 3
; NumSGPRsForWavesPerEU: 38
; NumVGPRsForWavesPerEU: 29
; Occupancy: 16
; WaveLimiterHint : 0
; COMPUTE_PGM_RSRC2:SCRATCH_EN: 0
; COMPUTE_PGM_RSRC2:USER_SGPR: 2
; COMPUTE_PGM_RSRC2:TRAP_HANDLER: 0
; COMPUTE_PGM_RSRC2:TGID_X_EN: 1
; COMPUTE_PGM_RSRC2:TGID_Y_EN: 0
; COMPUTE_PGM_RSRC2:TGID_Z_EN: 1
; COMPUTE_PGM_RSRC2:TIDIG_COMP_CNT: 0
	.section	.text._ZL20rocblas_tpmvc_kernelILi512EPKfPfS2_EvbbiT0_llT1_lllT2_li,"axG",@progbits,_ZL20rocblas_tpmvc_kernelILi512EPKfPfS2_EvbbiT0_llT1_lllT2_li,comdat
	.globl	_ZL20rocblas_tpmvc_kernelILi512EPKfPfS2_EvbbiT0_llT1_lllT2_li ; -- Begin function _ZL20rocblas_tpmvc_kernelILi512EPKfPfS2_EvbbiT0_llT1_lllT2_li
	.p2align	8
	.type	_ZL20rocblas_tpmvc_kernelILi512EPKfPfS2_EvbbiT0_llT1_lllT2_li,@function
_ZL20rocblas_tpmvc_kernelILi512EPKfPfS2_EvbbiT0_llT1_lllT2_li: ; @_ZL20rocblas_tpmvc_kernelILi512EPKfPfS2_EvbbiT0_llT1_lllT2_li
; %bb.0:
	s_load_b32 s30, s[0:1], 0x50
	s_lshr_b32 s20, ttmp7, 16
	s_wait_kmcnt 0x0
	s_cmp_ge_u32 s20, s30
	s_cbranch_scc1 .LBB2_21
; %bb.1:
	s_clause 0x4
	s_load_b32 s2, s[0:1], 0x0
	s_load_b64 s[22:23], s[0:1], 0x0
	s_load_b32 s3, s[0:1], 0x64
	s_load_b512 s[4:19], s[0:1], 0x8
	s_load_b64 s[24:25], s[0:1], 0x48
	s_mov_b32 s21, 0
	s_wait_kmcnt 0x0
	s_bitcmp1_b32 s2, 0
	s_cselect_b32 s0, -1, 0
	s_delay_alu instid0(SALU_CYCLE_1)
	s_xor_b32 s31, s0, -1
	s_bitcmp1_b32 s22, 8
	s_mov_b32 s0, s23
	s_cselect_b32 s22, -1, 0
	s_and_b32 s1, s3, 0xffff
	s_lshl_b64 s[12:13], s[12:13], 2
	v_mad_co_u64_u32 v[0:1], null, ttmp9, s1, v[0:1]
	s_ashr_i32 s1, s23, 31
	s_add_nc_u64 s[10:11], s[10:11], s[12:13]
	s_wait_alu 0xfffe
	s_lshl_b64 s[0:1], s[0:1], 2
	s_lshl_b64 s[2:3], s[6:7], 2
	s_wait_alu 0xfffe
	s_add_nc_u64 s[12:13], s[0:1], -4
	s_add_nc_u64 s[6:7], s[4:5], s[2:3]
	v_ashrrev_i32_e32 v1, 31, v0
	v_add_co_u32 v3, vcc_lo, v0, -1
	v_add_nc_u32_e32 v2, 1, v0
	v_mul_lo_u32 v21, s15, v0
	s_delay_alu instid0(VALU_DEP_4) | instskip(NEXT) | instid1(VALU_DEP_4)
	v_add_co_ci_u32_e64 v4, null, -1, v1, vcc_lo
	v_mul_lo_u32 v18, v3, v1
	s_delay_alu instid0(VALU_DEP_4) | instskip(SKIP_1) | instid1(VALU_DEP_4)
	v_mad_co_u64_u32 v[12:13], null, v2, v0, 0
	v_mad_co_u64_u32 v[14:15], null, v3, v0, 0
	v_mul_lo_u32 v19, v4, v0
	v_mad_co_u64_u32 v[6:7], null, s14, v0, 0
	v_mul_lo_u32 v23, s14, v1
	v_lshlrev_b64_e32 v[4:5], 2, v[0:1]
	v_mul_lo_u32 v26, s12, v1
	v_mad_co_i64_i32 v[8:9], null, v0, s23, 0
	v_add3_u32 v15, v15, v18, v19
	v_mad_co_u64_u32 v[18:19], null, v2, v1, v[13:14]
	v_mul_lo_u32 v22, s13, v0
	v_mad_co_u64_u32 v[10:11], null, s12, v0, s[2:3]
	s_delay_alu instid0(VALU_DEP_4)
	v_lshrrev_b64 v[14:15], 1, v[14:15]
	v_add3_u32 v7, v7, v23, v21
	s_xor_b32 s22, s22, -1
	v_mov_b32_e32 v13, v18
	v_ashrrev_i32_e32 v3, 31, v2
	v_mad_co_i64_i32 v[16:17], null, v2, v0, 0
	v_mul_lo_u32 v25, s15, v2
	v_mad_co_u64_u32 v[19:20], null, s14, v2, 0
	s_delay_alu instid0(VALU_DEP_4)
	v_mul_lo_u32 v1, s14, v3
	v_sub_co_u32 v8, vcc_lo, v8, v14
	v_lshrrev_b64 v[23:24], 1, v[16:17]
	v_lshlrev_b64_e32 v[16:17], 2, v[2:3]
	v_add3_u32 v11, v22, v11, v26
	s_wait_alu 0xfffd
	v_sub_co_ci_u32_e64 v9, null, v9, v15, vcc_lo
	v_add3_u32 v20, v20, v1, v25
	v_add_co_u32 v1, vcc_lo, s18, v4
	s_wait_alu 0xfffd
	v_add_co_ci_u32_e64 v3, null, s19, v5, vcc_lo
	s_delay_alu instid0(VALU_DEP_3)
	v_lshlrev_b64_e32 v[18:19], 2, v[19:20]
	v_add_co_u32 v20, vcc_lo, v10, v16
	s_wait_alu 0xfffd
	v_add_co_ci_u32_e64 v21, null, v11, v17, vcc_lo
	v_lshlrev_b64_e32 v[10:11], 2, v[14:15]
	v_lshlrev_b64_e32 v[12:13], 1, v[12:13]
	v_add_co_u32 v16, vcc_lo, s10, v18
	s_wait_alu 0xfffd
	v_add_co_ci_u32_e64 v17, null, s11, v19, vcc_lo
	s_delay_alu instid0(VALU_DEP_4) | instskip(SKIP_3) | instid1(VALU_DEP_3)
	v_sub_co_u32 v10, vcc_lo, v20, v10
	s_wait_alu 0xfffd
	v_sub_co_ci_u32_e64 v11, null, v21, v11, vcc_lo
	v_and_b32_e32 v12, -4, v12
	v_add_co_u32 v18, vcc_lo, s4, v10
	s_wait_alu 0xfffd
	s_delay_alu instid0(VALU_DEP_3)
	v_add_co_ci_u32_e64 v19, null, s5, v11, vcc_lo
	v_lshlrev_b64_e32 v[10:11], 2, v[23:24]
	v_mov_b32_e32 v23, 0
	v_add_co_u32 v20, vcc_lo, s6, v12
	v_lshlrev_b64_e32 v[6:7], 2, v[6:7]
	v_lshlrev_b64_e32 v[8:9], 2, v[8:9]
	v_cmp_gt_i32_e64 s0, s23, v0
	v_cmp_lt_i32_e64 s1, 0, v0
	v_cmp_gt_i32_e64 s2, s23, v2
	s_wait_alu 0xfffd
	v_add_co_ci_u32_e64 v21, null, s7, v13, vcc_lo
	s_wait_alu 0xfffe
	v_cndmask_b32_e64 v22, 0, 1, s22
	s_lshl_b64 s[4:5], s[16:17], 2
	s_lshl_b64 s[12:13], s[14:15], 2
	;; [unrolled: 1-line block ×3, first 2 shown]
	s_branch .LBB2_5
.LBB2_2:                                ;   in Loop: Header=BB2_5 Depth=1
	s_wait_alu 0xfffe
	s_or_b32 exec_lo, exec_lo, s28
	s_wait_loadcnt 0x0
	v_mov_b32_e32 v25, v24
.LBB2_3:                                ;   in Loop: Header=BB2_5 Depth=1
	s_mul_u64 s[18:19], s[24:25], s[20:21]
	s_wait_alu 0xfffe
	s_lshl_b64 s[18:19], s[18:19], 2
	s_wait_alu 0xfffe
	v_add_co_u32 v12, vcc_lo, v1, s18
	s_wait_alu 0xfffd
	v_add_co_ci_u32_e64 v13, null, s19, v3, vcc_lo
	global_store_b32 v[12:13], v25, off
.LBB2_4:                                ;   in Loop: Header=BB2_5 Depth=1
	s_or_b32 exec_lo, exec_lo, s33
	s_add_co_i32 s20, s20, 0x10000
	s_delay_alu instid0(SALU_CYCLE_1)
	s_cmp_lt_u32 s20, s30
	s_cbranch_scc0 .LBB2_21
.LBB2_5:                                ; =>This Loop Header: Depth=1
                                        ;     Child Loop BB2_11 Depth 2
                                        ;     Child Loop BB2_19 Depth 2
	s_and_saveexec_b32 s33, s0
	s_cbranch_execz .LBB2_4
; %bb.6:                                ;   in Loop: Header=BB2_5 Depth=1
	s_mul_u64 s[18:19], s[16:17], s[20:21]
	v_cmp_ne_u32_e64 s3, 1, v22
	s_wait_alu 0xfffe
	s_lshl_b64 s[18:19], s[18:19], 2
	s_mul_u64 s[26:27], s[14:15], s[20:21]
	s_wait_alu 0xfffe
	s_add_nc_u64 s[18:19], s[10:11], s[18:19]
	s_mov_b32 s34, -1
	s_wait_alu 0xfffe
	v_add_co_u32 v12, vcc_lo, s18, v6
	s_wait_alu 0xfffd
	v_add_co_ci_u32_e64 v13, null, s19, v7, vcc_lo
	s_mul_u64 s[18:19], s[8:9], s[20:21]
	s_and_b32 vcc_lo, exec_lo, s31
	s_wait_alu 0xfffe
	s_lshl_b64 s[28:29], s[18:19], 2
	s_wait_loadcnt 0x0
	global_load_b32 v24, v[12:13], off
	s_mul_u64 s[18:19], s[4:5], s[20:21]
	s_wait_alu 0xfffe
	s_add_nc_u64 s[28:29], s[6:7], s[28:29]
                                        ; implicit-def: $vgpr25
	s_cbranch_vccz .LBB2_14
; %bb.7:                                ;   in Loop: Header=BB2_5 Depth=1
	s_wait_loadcnt 0x0
	v_mov_b32_e32 v25, v24
	s_and_b32 vcc_lo, exec_lo, s3
	s_wait_alu 0xfffe
	s_cbranch_vccnz .LBB2_9
; %bb.8:                                ;   in Loop: Header=BB2_5 Depth=1
	v_add_co_u32 v12, vcc_lo, s28, v8
	s_wait_alu 0xfffd
	v_add_co_ci_u32_e64 v13, null, s29, v9, vcc_lo
	global_load_b32 v12, v[12:13], off
	s_wait_loadcnt 0x0
	v_mul_f32_e32 v25, v24, v12
.LBB2_9:                                ;   in Loop: Header=BB2_5 Depth=1
	s_and_saveexec_b32 s34, s2
	s_cbranch_execz .LBB2_13
; %bb.10:                               ;   in Loop: Header=BB2_5 Depth=1
	v_add_co_u32 v12, vcc_lo, v16, s18
	s_wait_alu 0xfffd
	v_add_co_ci_u32_e64 v13, null, s19, v17, vcc_lo
	v_add_co_u32 v14, vcc_lo, v18, s26
	s_wait_alu 0xfffd
	v_add_co_ci_u32_e64 v15, null, s27, v19, vcc_lo
	v_mov_b32_e32 v26, v2
	s_mov_b32 s35, 0
.LBB2_11:                               ;   Parent Loop BB2_5 Depth=1
                                        ; =>  This Inner Loop Header: Depth=2
	global_load_b32 v27, v[14:15], off
	global_load_b32 v28, v[12:13], off
	v_add_nc_u32_e32 v26, 1, v26
	v_add_co_u32 v12, vcc_lo, v12, s12
	s_wait_alu 0xfffd
	v_add_co_ci_u32_e64 v13, null, s13, v13, vcc_lo
	v_add_co_u32 v14, vcc_lo, v14, 4
	s_wait_alu 0xfffd
	v_add_co_ci_u32_e64 v15, null, 0, v15, vcc_lo
	s_wait_loadcnt 0x0
	v_fmac_f32_e32 v25, v27, v28
	v_cmp_le_i32_e64 s3, s23, v26
	s_or_b32 s35, s3, s35
	s_delay_alu instid0(SALU_CYCLE_1)
	s_and_not1_b32 exec_lo, exec_lo, s35
	s_cbranch_execnz .LBB2_11
; %bb.12:                               ;   in Loop: Header=BB2_5 Depth=1
	s_or_b32 exec_lo, exec_lo, s35
.LBB2_13:                               ;   in Loop: Header=BB2_5 Depth=1
	s_delay_alu instid0(SALU_CYCLE_1)
	s_or_b32 exec_lo, exec_lo, s34
	s_mov_b32 s34, 0
.LBB2_14:                               ;   in Loop: Header=BB2_5 Depth=1
	s_delay_alu instid0(SALU_CYCLE_1)
	s_and_b32 vcc_lo, exec_lo, s34
	s_wait_alu 0xfffe
	s_cbranch_vccz .LBB2_3
; %bb.15:                               ;   in Loop: Header=BB2_5 Depth=1
	s_and_not1_b32 vcc_lo, exec_lo, s22
	s_wait_alu 0xfffe
	s_cbranch_vccnz .LBB2_17
; %bb.16:                               ;   in Loop: Header=BB2_5 Depth=1
	v_add_co_u32 v12, vcc_lo, s28, v10
	s_wait_alu 0xfffd
	v_add_co_ci_u32_e64 v13, null, s29, v11, vcc_lo
	s_delay_alu instid0(VALU_DEP_2) | instskip(SKIP_1) | instid1(VALU_DEP_2)
	v_add_co_u32 v12, vcc_lo, v12, v4
	s_wait_alu 0xfffd
	v_add_co_ci_u32_e64 v13, null, v13, v5, vcc_lo
	global_load_b32 v12, v[12:13], off
	s_wait_loadcnt 0x0
	v_mul_f32_e32 v24, v24, v12
.LBB2_17:                               ;   in Loop: Header=BB2_5 Depth=1
	s_and_saveexec_b32 s28, s1
	s_cbranch_execz .LBB2_2
; %bb.18:                               ;   in Loop: Header=BB2_5 Depth=1
	v_add_co_u32 v12, vcc_lo, v20, s26
	s_wait_alu 0xfffd
	v_add_co_ci_u32_e64 v13, null, s27, v21, vcc_lo
	v_mov_b32_e32 v14, v0
	s_add_nc_u64 s[18:19], s[10:11], s[18:19]
	s_mov_b32 s26, 0
.LBB2_19:                               ;   Parent Loop BB2_5 Depth=1
                                        ; =>  This Inner Loop Header: Depth=2
	global_load_b32 v15, v[12:13], off
	global_load_b32 v25, v23, s[18:19]
	v_add_nc_u32_e32 v14, -1, v14
	v_add_co_u32 v12, vcc_lo, v12, 4
	s_wait_alu 0xfffd
	v_add_co_ci_u32_e64 v13, null, 0, v13, vcc_lo
	s_delay_alu instid0(VALU_DEP_3)
	v_cmp_eq_u32_e64 s3, 0, v14
	s_wait_alu 0xfffe
	s_add_nc_u64 s[18:19], s[18:19], s[12:13]
	s_or_b32 s26, s3, s26
	s_wait_loadcnt 0x0
	v_fmac_f32_e32 v24, v15, v25
	s_wait_alu 0xfffe
	s_and_not1_b32 exec_lo, exec_lo, s26
	s_cbranch_execnz .LBB2_19
; %bb.20:                               ;   in Loop: Header=BB2_5 Depth=1
	s_or_b32 exec_lo, exec_lo, s26
	s_branch .LBB2_2
.LBB2_21:
	s_endpgm
	.section	.rodata,"a",@progbits
	.p2align	6, 0x0
	.amdhsa_kernel _ZL20rocblas_tpmvc_kernelILi512EPKfPfS2_EvbbiT0_llT1_lllT2_li
		.amdhsa_group_segment_fixed_size 0
		.amdhsa_private_segment_fixed_size 0
		.amdhsa_kernarg_size 344
		.amdhsa_user_sgpr_count 2
		.amdhsa_user_sgpr_dispatch_ptr 0
		.amdhsa_user_sgpr_queue_ptr 0
		.amdhsa_user_sgpr_kernarg_segment_ptr 1
		.amdhsa_user_sgpr_dispatch_id 0
		.amdhsa_user_sgpr_private_segment_size 0
		.amdhsa_wavefront_size32 1
		.amdhsa_uses_dynamic_stack 0
		.amdhsa_enable_private_segment 0
		.amdhsa_system_sgpr_workgroup_id_x 1
		.amdhsa_system_sgpr_workgroup_id_y 0
		.amdhsa_system_sgpr_workgroup_id_z 1
		.amdhsa_system_sgpr_workgroup_info 0
		.amdhsa_system_vgpr_workitem_id 0
		.amdhsa_next_free_vgpr 29
		.amdhsa_next_free_sgpr 36
		.amdhsa_reserve_vcc 1
		.amdhsa_float_round_mode_32 0
		.amdhsa_float_round_mode_16_64 0
		.amdhsa_float_denorm_mode_32 3
		.amdhsa_float_denorm_mode_16_64 3
		.amdhsa_fp16_overflow 0
		.amdhsa_workgroup_processor_mode 1
		.amdhsa_memory_ordered 1
		.amdhsa_forward_progress 1
		.amdhsa_inst_pref_size 11
		.amdhsa_round_robin_scheduling 0
		.amdhsa_exception_fp_ieee_invalid_op 0
		.amdhsa_exception_fp_denorm_src 0
		.amdhsa_exception_fp_ieee_div_zero 0
		.amdhsa_exception_fp_ieee_overflow 0
		.amdhsa_exception_fp_ieee_underflow 0
		.amdhsa_exception_fp_ieee_inexact 0
		.amdhsa_exception_int_div_zero 0
	.end_amdhsa_kernel
	.section	.text._ZL20rocblas_tpmvc_kernelILi512EPKfPfS2_EvbbiT0_llT1_lllT2_li,"axG",@progbits,_ZL20rocblas_tpmvc_kernelILi512EPKfPfS2_EvbbiT0_llT1_lllT2_li,comdat
.Lfunc_end2:
	.size	_ZL20rocblas_tpmvc_kernelILi512EPKfPfS2_EvbbiT0_llT1_lllT2_li, .Lfunc_end2-_ZL20rocblas_tpmvc_kernelILi512EPKfPfS2_EvbbiT0_llT1_lllT2_li
                                        ; -- End function
	.set _ZL20rocblas_tpmvc_kernelILi512EPKfPfS2_EvbbiT0_llT1_lllT2_li.num_vgpr, 29
	.set _ZL20rocblas_tpmvc_kernelILi512EPKfPfS2_EvbbiT0_llT1_lllT2_li.num_agpr, 0
	.set _ZL20rocblas_tpmvc_kernelILi512EPKfPfS2_EvbbiT0_llT1_lllT2_li.numbered_sgpr, 36
	.set _ZL20rocblas_tpmvc_kernelILi512EPKfPfS2_EvbbiT0_llT1_lllT2_li.num_named_barrier, 0
	.set _ZL20rocblas_tpmvc_kernelILi512EPKfPfS2_EvbbiT0_llT1_lllT2_li.private_seg_size, 0
	.set _ZL20rocblas_tpmvc_kernelILi512EPKfPfS2_EvbbiT0_llT1_lllT2_li.uses_vcc, 1
	.set _ZL20rocblas_tpmvc_kernelILi512EPKfPfS2_EvbbiT0_llT1_lllT2_li.uses_flat_scratch, 0
	.set _ZL20rocblas_tpmvc_kernelILi512EPKfPfS2_EvbbiT0_llT1_lllT2_li.has_dyn_sized_stack, 0
	.set _ZL20rocblas_tpmvc_kernelILi512EPKfPfS2_EvbbiT0_llT1_lllT2_li.has_recursion, 0
	.set _ZL20rocblas_tpmvc_kernelILi512EPKfPfS2_EvbbiT0_llT1_lllT2_li.has_indirect_call, 0
	.section	.AMDGPU.csdata,"",@progbits
; Kernel info:
; codeLenInByte = 1300
; TotalNumSgprs: 38
; NumVgprs: 29
; ScratchSize: 0
; MemoryBound: 0
; FloatMode: 240
; IeeeMode: 1
; LDSByteSize: 0 bytes/workgroup (compile time only)
; SGPRBlocks: 0
; VGPRBlocks: 3
; NumSGPRsForWavesPerEU: 38
; NumVGPRsForWavesPerEU: 29
; Occupancy: 16
; WaveLimiterHint : 0
; COMPUTE_PGM_RSRC2:SCRATCH_EN: 0
; COMPUTE_PGM_RSRC2:USER_SGPR: 2
; COMPUTE_PGM_RSRC2:TRAP_HANDLER: 0
; COMPUTE_PGM_RSRC2:TGID_X_EN: 1
; COMPUTE_PGM_RSRC2:TGID_Y_EN: 0
; COMPUTE_PGM_RSRC2:TGID_Z_EN: 1
; COMPUTE_PGM_RSRC2:TIDIG_COMP_CNT: 0
	.section	.text._ZL20rocblas_tpmvn_kernelILi512EPKdPdS2_EvbbiT0_llT1_lllT2_li,"axG",@progbits,_ZL20rocblas_tpmvn_kernelILi512EPKdPdS2_EvbbiT0_llT1_lllT2_li,comdat
	.globl	_ZL20rocblas_tpmvn_kernelILi512EPKdPdS2_EvbbiT0_llT1_lllT2_li ; -- Begin function _ZL20rocblas_tpmvn_kernelILi512EPKdPdS2_EvbbiT0_llT1_lllT2_li
	.p2align	8
	.type	_ZL20rocblas_tpmvn_kernelILi512EPKdPdS2_EvbbiT0_llT1_lllT2_li,@function
_ZL20rocblas_tpmvn_kernelILi512EPKdPdS2_EvbbiT0_llT1_lllT2_li: ; @_ZL20rocblas_tpmvn_kernelILi512EPKdPdS2_EvbbiT0_llT1_lllT2_li
; %bb.0:
	s_load_b32 s33, s[0:1], 0x50
	s_lshr_b32 s20, ttmp7, 16
	s_wait_kmcnt 0x0
	s_cmp_ge_u32 s20, s33
	s_cbranch_scc1 .LBB3_21
; %bb.1:
	s_clause 0x4
	s_load_b32 s2, s[0:1], 0x0
	s_load_b64 s[22:23], s[0:1], 0x0
	s_load_b32 s3, s[0:1], 0x64
	s_load_b512 s[4:19], s[0:1], 0x8
	s_load_b64 s[24:25], s[0:1], 0x48
	v_mov_b32_e32 v26, 0
	s_wait_kmcnt 0x0
	s_bitcmp1_b32 s2, 0
	s_mov_b32 s26, s23
	s_cselect_b32 s2, -1, 0
	s_delay_alu instid0(SALU_CYCLE_1)
	s_xor_b32 s38, s2, -1
	s_bitcmp1_b32 s22, 8
	s_cselect_b32 s21, -1, 0
	s_and_b32 s0, s3, 0xffff
	s_lshl_b64 s[2:3], s[12:13], 3
	v_mad_co_u64_u32 v[0:1], null, ttmp9, s0, v[0:1]
	s_lshl_b64 s[0:1], s[6:7], 3
	s_add_nc_u64 s[6:7], s[10:11], s[2:3]
	s_xor_b32 s22, s21, -1
	s_wait_alu 0xfffe
	s_add_nc_u64 s[4:5], s[4:5], s[0:1]
	v_cndmask_b32_e64 v22, 0, 1, s22
	s_ashr_i32 s27, s23, 31
	v_ashrrev_i32_e32 v1, 31, v0
	v_add_co_u32 v3, vcc_lo, v0, -1
	v_add_nc_u32_e32 v2, 1, v0
	v_mad_co_i64_i32 v[10:11], null, v0, s23, 0
	s_delay_alu instid0(VALU_DEP_4) | instskip(NEXT) | instid1(VALU_DEP_4)
	v_add_co_ci_u32_e64 v5, null, -1, v1, vcc_lo
	v_mul_lo_u32 v6, v3, v1
	v_mad_co_u64_u32 v[12:13], null, v3, v0, 0
	s_delay_alu instid0(VALU_DEP_3) | instskip(SKIP_4) | instid1(VALU_DEP_4)
	v_mul_lo_u32 v5, v5, v0
	v_ashrrev_i32_e32 v3, 31, v2
	v_mul_lo_u32 v20, s15, v2
	v_mad_co_u64_u32 v[14:15], null, s14, v2, 0
	v_mad_co_i64_i32 v[16:17], null, v2, v0, 0
	v_mul_lo_u32 v21, s14, v3
	v_add3_u32 v13, v13, v6, v5
	v_lshlrev_b64_e32 v[6:7], 3, v[0:1]
	v_mul_lo_u32 v18, s15, v0
	v_mad_co_u64_u32 v[8:9], null, s14, v0, 0
	v_mul_lo_u32 v19, s14, v1
	v_lshrrev_b64 v[12:13], 1, v[12:13]
	v_add3_u32 v15, v15, v21, v20
	v_add_co_u32 v1, vcc_lo, s18, v6
	s_wait_alu 0xfffd
	v_add_co_ci_u32_e64 v23, null, s19, v7, vcc_lo
	s_delay_alu instid0(VALU_DEP_3)
	v_lshlrev_b64_e32 v[14:15], 3, v[14:15]
	v_sub_co_u32 v10, vcc_lo, v10, v12
	v_lshrrev_b64 v[16:17], 1, v[16:17]
	v_add3_u32 v9, v9, v19, v18
	s_wait_alu 0xfffd
	v_sub_co_ci_u32_e64 v11, null, v11, v13, vcc_lo
	v_add_nc_u32_e32 v4, 2, v0
	v_add_co_u32 v24, vcc_lo, s6, v14
	v_lshlrev_b64_e32 v[8:9], 3, v[8:9]
	s_delay_alu instid0(VALU_DEP_4)
	v_lshlrev_b64_e32 v[10:11], 3, v[10:11]
	v_lshlrev_b64_e32 v[12:13], 3, v[16:17]
	v_cmp_gt_i32_e64 s0, s23, v0
	v_cmp_lt_i32_e64 s1, 0, v0
	v_cmp_gt_i32_e64 s2, s23, v2
	v_ashrrev_i32_e32 v5, 31, v4
	s_wait_alu 0xfffd
	v_add_co_ci_u32_e64 v25, null, s7, v15, vcc_lo
	s_mov_b32 s21, 0
	s_lshl_b64 s[10:11], s[16:17], 3
	s_lshl_b64 s[12:13], s[14:15], 3
	s_branch .LBB3_5
.LBB3_2:                                ;   in Loop: Header=BB3_5 Depth=1
	s_or_b32 exec_lo, exec_lo, s28
	s_wait_loadcnt 0x0
	s_delay_alu instid0(VALU_DEP_1)
	v_dual_mov_b32 v17, v15 :: v_dual_mov_b32 v16, v14
.LBB3_3:                                ;   in Loop: Header=BB3_5 Depth=1
	s_mul_u64 s[14:15], s[24:25], s[20:21]
	s_wait_alu 0xfffe
	s_lshl_b64 s[14:15], s[14:15], 3
	s_wait_loadcnt 0x0
	s_wait_alu 0xfffe
	v_add_co_u32 v14, vcc_lo, v1, s14
	s_wait_alu 0xfffd
	v_add_co_ci_u32_e64 v15, null, s15, v23, vcc_lo
	global_store_b64 v[14:15], v[16:17], off
.LBB3_4:                                ;   in Loop: Header=BB3_5 Depth=1
	s_or_b32 exec_lo, exec_lo, s39
	s_add_co_i32 s20, s20, 0x10000
	s_delay_alu instid0(SALU_CYCLE_1)
	s_cmp_lt_u32 s20, s33
	s_cbranch_scc0 .LBB3_21
.LBB3_5:                                ; =>This Loop Header: Depth=1
                                        ;     Child Loop BB3_11 Depth 2
                                        ;     Child Loop BB3_19 Depth 2
	s_and_saveexec_b32 s39, s0
	s_cbranch_execz .LBB3_4
; %bb.6:                                ;   in Loop: Header=BB3_5 Depth=1
	s_mul_u64 s[14:15], s[16:17], s[20:21]
	v_cmp_ne_u32_e64 s3, 1, v22
	s_wait_alu 0xfffe
	s_lshl_b64 s[14:15], s[14:15], 3
	s_mov_b32 s28, -1
	s_wait_alu 0xfffe
	s_add_nc_u64 s[14:15], s[6:7], s[14:15]
                                        ; implicit-def: $vgpr16_vgpr17
	s_wait_alu 0xfffe
	v_add_co_u32 v14, vcc_lo, s14, v8
	s_wait_alu 0xfffd
	v_add_co_ci_u32_e64 v15, null, s15, v9, vcc_lo
	s_mul_u64 s[14:15], s[8:9], s[20:21]
	s_and_b32 vcc_lo, exec_lo, s38
	s_wait_alu 0xfffe
	s_lshl_b64 s[18:19], s[14:15], 3
	global_load_b64 v[14:15], v[14:15], off
	s_mul_u64 s[14:15], s[10:11], s[20:21]
	s_wait_alu 0xfffe
	s_add_nc_u64 s[18:19], s[4:5], s[18:19]
	s_cbranch_vccz .LBB3_14
; %bb.7:                                ;   in Loop: Header=BB3_5 Depth=1
	s_wait_loadcnt 0x0
	v_dual_mov_b32 v17, v15 :: v_dual_mov_b32 v16, v14
	s_and_b32 vcc_lo, exec_lo, s3
	s_wait_alu 0xfffe
	s_cbranch_vccnz .LBB3_9
; %bb.8:                                ;   in Loop: Header=BB3_5 Depth=1
	v_add_co_u32 v16, vcc_lo, s18, v10
	s_wait_alu 0xfffd
	v_add_co_ci_u32_e64 v17, null, s19, v11, vcc_lo
	global_load_b64 v[16:17], v[16:17], off
	s_wait_loadcnt 0x0
	v_mul_f64_e32 v[16:17], v[14:15], v[16:17]
.LBB3_9:                                ;   in Loop: Header=BB3_5 Depth=1
	s_and_saveexec_b32 s3, s1
	s_cbranch_execz .LBB3_13
; %bb.10:                               ;   in Loop: Header=BB3_5 Depth=1
	v_mov_b32_e32 v18, v0
	s_add_nc_u64 s[28:29], s[6:7], s[14:15]
	s_mov_b64 s[30:31], 0
	s_mov_b32 s40, 0
	s_mov_b64 s[36:37], 0
	s_mov_b64 s[34:35], 0
.LBB3_11:                               ;   Parent Loop BB3_5 Depth=1
                                        ; =>  This Inner Loop Header: Depth=2
	s_wait_alu 0xfffe
	v_add_co_u32 v19, s41, s34, v18
	s_wait_alu 0xf1ff
	v_add_co_ci_u32_e64 v20, null, s35, 0, s41
	s_lshr_b64 s[42:43], s[30:31], 1
	v_add_nc_u32_e32 v18, -1, v18
	s_wait_alu 0xfffe
	v_sub_co_u32 v19, vcc_lo, v19, s42
	s_wait_alu 0xfffd
	v_subrev_co_ci_u32_e64 v20, null, s43, v20, vcc_lo
	s_add_nc_u64 s[42:43], s[36:37], 2
	s_add_nc_u64 s[34:35], s[34:35], s[26:27]
	;; [unrolled: 1-line block ×3, first 2 shown]
	v_lshlrev_b64_e32 v[19:20], 3, v[19:20]
	s_wait_alu 0xfffe
	s_mov_b64 s[36:37], s[42:43]
	s_delay_alu instid0(VALU_DEP_1) | instskip(SKIP_1) | instid1(VALU_DEP_2)
	v_add_co_u32 v19, vcc_lo, s18, v19
	s_wait_alu 0xfffd
	v_add_co_ci_u32_e64 v20, null, s19, v20, vcc_lo
	v_cmp_eq_u32_e32 vcc_lo, 0, v18
	global_load_b64 v[27:28], v26, s[28:29]
	global_load_b64 v[19:20], v[19:20], off
	s_add_nc_u64 s[28:29], s[28:29], s[12:13]
	s_or_b32 s40, vcc_lo, s40
	s_wait_loadcnt 0x0
	v_fma_f64 v[16:17], v[19:20], v[27:28], v[16:17]
	s_wait_alu 0xfffe
	s_and_not1_b32 exec_lo, exec_lo, s40
	s_cbranch_execnz .LBB3_11
; %bb.12:                               ;   in Loop: Header=BB3_5 Depth=1
	s_or_b32 exec_lo, exec_lo, s40
.LBB3_13:                               ;   in Loop: Header=BB3_5 Depth=1
	s_delay_alu instid0(SALU_CYCLE_1)
	s_or_b32 exec_lo, exec_lo, s3
	s_mov_b32 s28, 0
.LBB3_14:                               ;   in Loop: Header=BB3_5 Depth=1
	s_delay_alu instid0(SALU_CYCLE_1)
	s_and_b32 vcc_lo, exec_lo, s28
	s_wait_alu 0xfffe
	s_cbranch_vccz .LBB3_3
; %bb.15:                               ;   in Loop: Header=BB3_5 Depth=1
	s_and_not1_b32 vcc_lo, exec_lo, s22
	s_wait_alu 0xfffe
	s_cbranch_vccnz .LBB3_17
; %bb.16:                               ;   in Loop: Header=BB3_5 Depth=1
	v_add_co_u32 v16, vcc_lo, s18, v12
	s_wait_alu 0xfffd
	v_add_co_ci_u32_e64 v17, null, s19, v13, vcc_lo
	s_delay_alu instid0(VALU_DEP_2) | instskip(SKIP_1) | instid1(VALU_DEP_2)
	v_add_co_u32 v16, vcc_lo, v16, v6
	s_wait_alu 0xfffd
	v_add_co_ci_u32_e64 v17, null, v17, v7, vcc_lo
	global_load_b64 v[16:17], v[16:17], off
	s_wait_loadcnt 0x0
	v_mul_f64_e32 v[14:15], v[14:15], v[16:17]
.LBB3_17:                               ;   in Loop: Header=BB3_5 Depth=1
	s_and_saveexec_b32 s28, s2
	s_cbranch_execz .LBB3_2
; %bb.18:                               ;   in Loop: Header=BB3_5 Depth=1
	v_add_co_u32 v27, vcc_lo, s18, v6
	s_wait_alu 0xfffd
	v_add_co_ci_u32_e64 v28, null, s19, v7, vcc_lo
	v_add_co_u32 v16, vcc_lo, v24, s14
	s_wait_alu 0xfffd
	v_add_co_ci_u32_e64 v17, null, s15, v25, vcc_lo
	v_dual_mov_b32 v21, v3 :: v_dual_mov_b32 v20, v2
	v_dual_mov_b32 v19, v5 :: v_dual_mov_b32 v18, v4
	s_mov_b32 s14, 0
.LBB3_19:                               ;   Parent Loop BB3_5 Depth=1
                                        ; =>  This Inner Loop Header: Depth=2
	s_delay_alu instid0(VALU_DEP_1) | instskip(NEXT) | instid1(VALU_DEP_2)
	v_mul_lo_u32 v31, v19, v20
	v_mul_lo_u32 v32, v18, v21
	v_mad_co_u64_u32 v[29:30], null, v18, v20, 0
	s_delay_alu instid0(VALU_DEP_1) | instskip(NEXT) | instid1(VALU_DEP_1)
	v_add3_u32 v30, v30, v32, v31
	v_lshlrev_b64_e32 v[29:30], 2, v[29:30]
	s_delay_alu instid0(VALU_DEP_1) | instskip(NEXT) | instid1(VALU_DEP_1)
	v_and_b32_e32 v29, -8, v29
	v_add_co_u32 v29, vcc_lo, v27, v29
	s_wait_alu 0xfffd
	s_delay_alu instid0(VALU_DEP_3)
	v_add_co_ci_u32_e64 v30, null, v28, v30, vcc_lo
	global_load_b64 v[31:32], v[16:17], off
	global_load_b64 v[29:30], v[29:30], off
	v_add_co_u32 v20, vcc_lo, v20, 1
	s_wait_alu 0xfffd
	v_add_co_ci_u32_e64 v21, null, 0, v21, vcc_lo
	v_add_co_u32 v18, vcc_lo, v18, 1
	s_wait_alu 0xfffd
	v_add_co_ci_u32_e64 v19, null, 0, v19, vcc_lo
	v_add_co_u32 v16, vcc_lo, v16, s12
	v_cmp_le_i32_e64 s3, s23, v20
	s_wait_alu 0xfffd
	v_add_co_ci_u32_e64 v17, null, s13, v17, vcc_lo
	s_wait_alu 0xfffe
	s_delay_alu instid0(VALU_DEP_2)
	s_or_b32 s14, s3, s14
	s_wait_loadcnt 0x0
	v_fma_f64 v[14:15], v[29:30], v[31:32], v[14:15]
	s_wait_alu 0xfffe
	s_and_not1_b32 exec_lo, exec_lo, s14
	s_cbranch_execnz .LBB3_19
; %bb.20:                               ;   in Loop: Header=BB3_5 Depth=1
	s_or_b32 exec_lo, exec_lo, s14
	s_branch .LBB3_2
.LBB3_21:
	s_endpgm
	.section	.rodata,"a",@progbits
	.p2align	6, 0x0
	.amdhsa_kernel _ZL20rocblas_tpmvn_kernelILi512EPKdPdS2_EvbbiT0_llT1_lllT2_li
		.amdhsa_group_segment_fixed_size 0
		.amdhsa_private_segment_fixed_size 0
		.amdhsa_kernarg_size 344
		.amdhsa_user_sgpr_count 2
		.amdhsa_user_sgpr_dispatch_ptr 0
		.amdhsa_user_sgpr_queue_ptr 0
		.amdhsa_user_sgpr_kernarg_segment_ptr 1
		.amdhsa_user_sgpr_dispatch_id 0
		.amdhsa_user_sgpr_private_segment_size 0
		.amdhsa_wavefront_size32 1
		.amdhsa_uses_dynamic_stack 0
		.amdhsa_enable_private_segment 0
		.amdhsa_system_sgpr_workgroup_id_x 1
		.amdhsa_system_sgpr_workgroup_id_y 0
		.amdhsa_system_sgpr_workgroup_id_z 1
		.amdhsa_system_sgpr_workgroup_info 0
		.amdhsa_system_vgpr_workitem_id 0
		.amdhsa_next_free_vgpr 33
		.amdhsa_next_free_sgpr 44
		.amdhsa_reserve_vcc 1
		.amdhsa_float_round_mode_32 0
		.amdhsa_float_round_mode_16_64 0
		.amdhsa_float_denorm_mode_32 3
		.amdhsa_float_denorm_mode_16_64 3
		.amdhsa_fp16_overflow 0
		.amdhsa_workgroup_processor_mode 1
		.amdhsa_memory_ordered 1
		.amdhsa_forward_progress 1
		.amdhsa_inst_pref_size 11
		.amdhsa_round_robin_scheduling 0
		.amdhsa_exception_fp_ieee_invalid_op 0
		.amdhsa_exception_fp_denorm_src 0
		.amdhsa_exception_fp_ieee_div_zero 0
		.amdhsa_exception_fp_ieee_overflow 0
		.amdhsa_exception_fp_ieee_underflow 0
		.amdhsa_exception_fp_ieee_inexact 0
		.amdhsa_exception_int_div_zero 0
	.end_amdhsa_kernel
	.section	.text._ZL20rocblas_tpmvn_kernelILi512EPKdPdS2_EvbbiT0_llT1_lllT2_li,"axG",@progbits,_ZL20rocblas_tpmvn_kernelILi512EPKdPdS2_EvbbiT0_llT1_lllT2_li,comdat
.Lfunc_end3:
	.size	_ZL20rocblas_tpmvn_kernelILi512EPKdPdS2_EvbbiT0_llT1_lllT2_li, .Lfunc_end3-_ZL20rocblas_tpmvn_kernelILi512EPKdPdS2_EvbbiT0_llT1_lllT2_li
                                        ; -- End function
	.set _ZL20rocblas_tpmvn_kernelILi512EPKdPdS2_EvbbiT0_llT1_lllT2_li.num_vgpr, 33
	.set _ZL20rocblas_tpmvn_kernelILi512EPKdPdS2_EvbbiT0_llT1_lllT2_li.num_agpr, 0
	.set _ZL20rocblas_tpmvn_kernelILi512EPKdPdS2_EvbbiT0_llT1_lllT2_li.numbered_sgpr, 44
	.set _ZL20rocblas_tpmvn_kernelILi512EPKdPdS2_EvbbiT0_llT1_lllT2_li.num_named_barrier, 0
	.set _ZL20rocblas_tpmvn_kernelILi512EPKdPdS2_EvbbiT0_llT1_lllT2_li.private_seg_size, 0
	.set _ZL20rocblas_tpmvn_kernelILi512EPKdPdS2_EvbbiT0_llT1_lllT2_li.uses_vcc, 1
	.set _ZL20rocblas_tpmvn_kernelILi512EPKdPdS2_EvbbiT0_llT1_lllT2_li.uses_flat_scratch, 0
	.set _ZL20rocblas_tpmvn_kernelILi512EPKdPdS2_EvbbiT0_llT1_lllT2_li.has_dyn_sized_stack, 0
	.set _ZL20rocblas_tpmvn_kernelILi512EPKdPdS2_EvbbiT0_llT1_lllT2_li.has_recursion, 0
	.set _ZL20rocblas_tpmvn_kernelILi512EPKdPdS2_EvbbiT0_llT1_lllT2_li.has_indirect_call, 0
	.section	.AMDGPU.csdata,"",@progbits
; Kernel info:
; codeLenInByte = 1312
; TotalNumSgprs: 46
; NumVgprs: 33
; ScratchSize: 0
; MemoryBound: 0
; FloatMode: 240
; IeeeMode: 1
; LDSByteSize: 0 bytes/workgroup (compile time only)
; SGPRBlocks: 0
; VGPRBlocks: 4
; NumSGPRsForWavesPerEU: 46
; NumVGPRsForWavesPerEU: 33
; Occupancy: 16
; WaveLimiterHint : 0
; COMPUTE_PGM_RSRC2:SCRATCH_EN: 0
; COMPUTE_PGM_RSRC2:USER_SGPR: 2
; COMPUTE_PGM_RSRC2:TRAP_HANDLER: 0
; COMPUTE_PGM_RSRC2:TGID_X_EN: 1
; COMPUTE_PGM_RSRC2:TGID_Y_EN: 0
; COMPUTE_PGM_RSRC2:TGID_Z_EN: 1
; COMPUTE_PGM_RSRC2:TIDIG_COMP_CNT: 0
	.section	.text._ZL20rocblas_tpmvt_kernelILi512EPKdPdS2_EvbbiT0_llT1_lllT2_li,"axG",@progbits,_ZL20rocblas_tpmvt_kernelILi512EPKdPdS2_EvbbiT0_llT1_lllT2_li,comdat
	.globl	_ZL20rocblas_tpmvt_kernelILi512EPKdPdS2_EvbbiT0_llT1_lllT2_li ; -- Begin function _ZL20rocblas_tpmvt_kernelILi512EPKdPdS2_EvbbiT0_llT1_lllT2_li
	.p2align	8
	.type	_ZL20rocblas_tpmvt_kernelILi512EPKdPdS2_EvbbiT0_llT1_lllT2_li,@function
_ZL20rocblas_tpmvt_kernelILi512EPKdPdS2_EvbbiT0_llT1_lllT2_li: ; @_ZL20rocblas_tpmvt_kernelILi512EPKdPdS2_EvbbiT0_llT1_lllT2_li
; %bb.0:
	s_load_b32 s30, s[0:1], 0x50
	s_lshr_b32 s20, ttmp7, 16
	s_wait_kmcnt 0x0
	s_cmp_ge_u32 s20, s30
	s_cbranch_scc1 .LBB4_21
; %bb.1:
	s_clause 0x4
	s_load_b32 s2, s[0:1], 0x0
	s_load_b64 s[22:23], s[0:1], 0x0
	s_load_b32 s3, s[0:1], 0x64
	s_load_b512 s[4:19], s[0:1], 0x8
	s_load_b64 s[24:25], s[0:1], 0x48
	s_mov_b32 s21, 0
	v_mov_b32_e32 v27, 0
	s_wait_kmcnt 0x0
	s_bitcmp1_b32 s2, 0
	s_cselect_b32 s0, -1, 0
	s_delay_alu instid0(SALU_CYCLE_1)
	s_xor_b32 s31, s0, -1
	s_bitcmp1_b32 s22, 8
	s_mov_b32 s0, s23
	s_cselect_b32 s22, -1, 0
	s_and_b32 s1, s3, 0xffff
	s_lshl_b64 s[12:13], s[12:13], 3
	v_mad_co_u64_u32 v[0:1], null, ttmp9, s1, v[0:1]
	s_ashr_i32 s1, s23, 31
	s_add_nc_u64 s[10:11], s[10:11], s[12:13]
	s_wait_alu 0xfffe
	s_lshl_b64 s[0:1], s[0:1], 3
	s_lshl_b64 s[2:3], s[6:7], 3
	s_wait_alu 0xfffe
	s_add_nc_u64 s[12:13], s[0:1], -8
	s_add_nc_u64 s[6:7], s[4:5], s[2:3]
	v_ashrrev_i32_e32 v1, 31, v0
	v_add_co_u32 v3, vcc_lo, v0, -1
	v_add_nc_u32_e32 v2, 1, v0
	v_mul_lo_u32 v21, s15, v0
	s_delay_alu instid0(VALU_DEP_4) | instskip(NEXT) | instid1(VALU_DEP_4)
	v_add_co_ci_u32_e64 v4, null, -1, v1, vcc_lo
	v_mul_lo_u32 v18, v3, v1
	s_delay_alu instid0(VALU_DEP_4) | instskip(SKIP_1) | instid1(VALU_DEP_4)
	v_mad_co_u64_u32 v[12:13], null, v2, v0, 0
	v_mad_co_u64_u32 v[14:15], null, v3, v0, 0
	v_mul_lo_u32 v19, v4, v0
	v_mad_co_u64_u32 v[6:7], null, s14, v0, 0
	v_mul_lo_u32 v22, s14, v1
	v_lshlrev_b64_e32 v[4:5], 3, v[0:1]
	v_mul_lo_u32 v25, s12, v1
	v_mad_co_i64_i32 v[8:9], null, v0, s23, 0
	v_add3_u32 v15, v15, v18, v19
	v_mad_co_u64_u32 v[18:19], null, v2, v1, v[13:14]
	v_mul_lo_u32 v23, s13, v0
	v_mad_co_u64_u32 v[10:11], null, s12, v0, s[2:3]
	s_delay_alu instid0(VALU_DEP_4)
	v_lshrrev_b64 v[14:15], 1, v[14:15]
	v_add3_u32 v7, v7, v22, v21
	s_xor_b32 s22, s22, -1
	v_mov_b32_e32 v13, v18
	v_ashrrev_i32_e32 v3, 31, v2
	v_mul_lo_u32 v24, s15, v2
	v_mad_co_u64_u32 v[19:20], null, s14, v2, 0
	v_sub_co_u32 v8, vcc_lo, v8, v14
	s_delay_alu instid0(VALU_DEP_4)
	v_mul_lo_u32 v1, s14, v3
	v_lshlrev_b64_e32 v[21:22], 3, v[2:3]
	v_add3_u32 v11, v23, v11, v25
	s_wait_alu 0xfffd
	v_sub_co_ci_u32_e64 v9, null, v9, v15, vcc_lo
	v_mad_co_i64_i32 v[16:17], null, v2, v0, 0
	v_lshlrev_b64_e32 v[12:13], 2, v[12:13]
	v_add3_u32 v20, v20, v1, v24
	v_add_co_u32 v1, vcc_lo, s18, v4
	s_wait_alu 0xfffd
	v_add_co_ci_u32_e64 v3, null, s19, v5, vcc_lo
	s_delay_alu instid0(VALU_DEP_3) | instskip(SKIP_4) | instid1(VALU_DEP_4)
	v_lshlrev_b64_e32 v[18:19], 3, v[19:20]
	v_add_co_u32 v23, vcc_lo, v10, v21
	s_wait_alu 0xfffd
	v_add_co_ci_u32_e64 v22, null, v11, v22, vcc_lo
	v_lshlrev_b64_e32 v[10:11], 3, v[14:15]
	v_add_co_u32 v20, vcc_lo, s10, v18
	s_wait_alu 0xfffd
	v_add_co_ci_u32_e64 v21, null, s11, v19, vcc_lo
	v_lshrrev_b64 v[16:17], 1, v[16:17]
	s_delay_alu instid0(VALU_DEP_4) | instskip(SKIP_3) | instid1(VALU_DEP_3)
	v_sub_co_u32 v10, vcc_lo, v23, v10
	s_wait_alu 0xfffd
	v_sub_co_ci_u32_e64 v11, null, v22, v11, vcc_lo
	v_and_b32_e32 v12, -8, v12
	v_add_co_u32 v22, vcc_lo, s4, v10
	s_wait_alu 0xfffd
	s_delay_alu instid0(VALU_DEP_3) | instskip(NEXT) | instid1(VALU_DEP_3)
	v_add_co_ci_u32_e64 v23, null, s5, v11, vcc_lo
	v_add_co_u32 v24, vcc_lo, s6, v12
	v_lshlrev_b64_e32 v[6:7], 3, v[6:7]
	v_lshlrev_b64_e32 v[8:9], 3, v[8:9]
	;; [unrolled: 1-line block ×3, first 2 shown]
	v_cmp_gt_i32_e64 s0, s23, v0
	v_cmp_lt_i32_e64 s1, 0, v0
	v_cmp_gt_i32_e64 s2, s23, v2
	s_wait_alu 0xfffd
	v_add_co_ci_u32_e64 v25, null, s7, v13, vcc_lo
	s_wait_alu 0xfffe
	v_cndmask_b32_e64 v26, 0, 1, s22
	s_lshl_b64 s[4:5], s[16:17], 3
	s_lshl_b64 s[12:13], s[14:15], 3
	;; [unrolled: 1-line block ×3, first 2 shown]
	s_branch .LBB4_5
.LBB4_2:                                ;   in Loop: Header=BB4_5 Depth=1
	s_wait_alu 0xfffe
	s_or_b32 exec_lo, exec_lo, s28
	s_wait_loadcnt 0x0
	s_delay_alu instid0(VALU_DEP_1)
	v_dual_mov_b32 v15, v13 :: v_dual_mov_b32 v14, v12
.LBB4_3:                                ;   in Loop: Header=BB4_5 Depth=1
	s_mul_u64 s[18:19], s[24:25], s[20:21]
	s_wait_alu 0xfffe
	s_lshl_b64 s[18:19], s[18:19], 3
	s_wait_loadcnt 0x0
	s_wait_alu 0xfffe
	v_add_co_u32 v12, vcc_lo, v1, s18
	s_wait_alu 0xfffd
	v_add_co_ci_u32_e64 v13, null, s19, v3, vcc_lo
	global_store_b64 v[12:13], v[14:15], off
.LBB4_4:                                ;   in Loop: Header=BB4_5 Depth=1
	s_or_b32 exec_lo, exec_lo, s33
	s_add_co_i32 s20, s20, 0x10000
	s_delay_alu instid0(SALU_CYCLE_1)
	s_cmp_lt_u32 s20, s30
	s_cbranch_scc0 .LBB4_21
.LBB4_5:                                ; =>This Loop Header: Depth=1
                                        ;     Child Loop BB4_11 Depth 2
                                        ;     Child Loop BB4_19 Depth 2
	s_and_saveexec_b32 s33, s0
	s_cbranch_execz .LBB4_4
; %bb.6:                                ;   in Loop: Header=BB4_5 Depth=1
	s_mul_u64 s[18:19], s[16:17], s[20:21]
	v_cmp_ne_u32_e64 s3, 1, v26
	s_wait_alu 0xfffe
	s_lshl_b64 s[18:19], s[18:19], 3
	s_mul_u64 s[26:27], s[14:15], s[20:21]
	s_wait_alu 0xfffe
	s_add_nc_u64 s[18:19], s[10:11], s[18:19]
	s_mov_b32 s34, -1
	s_wait_alu 0xfffe
	v_add_co_u32 v12, vcc_lo, s18, v6
	s_wait_alu 0xfffd
	v_add_co_ci_u32_e64 v13, null, s19, v7, vcc_lo
	s_mul_u64 s[18:19], s[8:9], s[20:21]
	s_and_b32 vcc_lo, exec_lo, s31
	s_wait_alu 0xfffe
	s_lshl_b64 s[28:29], s[18:19], 3
	global_load_b64 v[12:13], v[12:13], off
	s_mul_u64 s[18:19], s[4:5], s[20:21]
	s_wait_alu 0xfffe
	s_add_nc_u64 s[28:29], s[6:7], s[28:29]
                                        ; implicit-def: $vgpr14_vgpr15
	s_cbranch_vccz .LBB4_14
; %bb.7:                                ;   in Loop: Header=BB4_5 Depth=1
	s_wait_loadcnt 0x0
	v_dual_mov_b32 v15, v13 :: v_dual_mov_b32 v14, v12
	s_and_b32 vcc_lo, exec_lo, s3
	s_wait_alu 0xfffe
	s_cbranch_vccnz .LBB4_9
; %bb.8:                                ;   in Loop: Header=BB4_5 Depth=1
	v_add_co_u32 v14, vcc_lo, s28, v8
	s_wait_alu 0xfffd
	v_add_co_ci_u32_e64 v15, null, s29, v9, vcc_lo
	global_load_b64 v[14:15], v[14:15], off
	s_wait_loadcnt 0x0
	v_mul_f64_e32 v[14:15], v[12:13], v[14:15]
.LBB4_9:                                ;   in Loop: Header=BB4_5 Depth=1
	s_and_saveexec_b32 s34, s2
	s_cbranch_execz .LBB4_13
; %bb.10:                               ;   in Loop: Header=BB4_5 Depth=1
	v_add_co_u32 v16, vcc_lo, v20, s18
	s_wait_alu 0xfffd
	v_add_co_ci_u32_e64 v17, null, s19, v21, vcc_lo
	v_add_co_u32 v18, vcc_lo, v22, s26
	s_wait_alu 0xfffd
	v_add_co_ci_u32_e64 v19, null, s27, v23, vcc_lo
	v_mov_b32_e32 v28, v2
	s_mov_b32 s35, 0
.LBB4_11:                               ;   Parent Loop BB4_5 Depth=1
                                        ; =>  This Inner Loop Header: Depth=2
	global_load_b64 v[29:30], v[18:19], off
	global_load_b64 v[31:32], v[16:17], off
	v_add_nc_u32_e32 v28, 1, v28
	v_add_co_u32 v16, vcc_lo, v16, s12
	s_wait_alu 0xfffd
	v_add_co_ci_u32_e64 v17, null, s13, v17, vcc_lo
	s_delay_alu instid0(VALU_DEP_3)
	v_cmp_le_i32_e32 vcc_lo, s23, v28
	v_add_co_u32 v18, s3, v18, 8
	s_wait_alu 0xf1ff
	v_add_co_ci_u32_e64 v19, null, 0, v19, s3
	s_or_b32 s35, vcc_lo, s35
	s_wait_loadcnt 0x0
	v_fma_f64 v[14:15], v[29:30], v[31:32], v[14:15]
	s_and_not1_b32 exec_lo, exec_lo, s35
	s_cbranch_execnz .LBB4_11
; %bb.12:                               ;   in Loop: Header=BB4_5 Depth=1
	s_or_b32 exec_lo, exec_lo, s35
.LBB4_13:                               ;   in Loop: Header=BB4_5 Depth=1
	s_delay_alu instid0(SALU_CYCLE_1)
	s_or_b32 exec_lo, exec_lo, s34
	s_mov_b32 s34, 0
.LBB4_14:                               ;   in Loop: Header=BB4_5 Depth=1
	s_delay_alu instid0(SALU_CYCLE_1)
	s_and_b32 vcc_lo, exec_lo, s34
	s_wait_alu 0xfffe
	s_cbranch_vccz .LBB4_3
; %bb.15:                               ;   in Loop: Header=BB4_5 Depth=1
	s_and_not1_b32 vcc_lo, exec_lo, s22
	s_wait_alu 0xfffe
	s_cbranch_vccnz .LBB4_17
; %bb.16:                               ;   in Loop: Header=BB4_5 Depth=1
	v_add_co_u32 v14, vcc_lo, s28, v10
	s_wait_alu 0xfffd
	v_add_co_ci_u32_e64 v15, null, s29, v11, vcc_lo
	s_delay_alu instid0(VALU_DEP_2) | instskip(SKIP_1) | instid1(VALU_DEP_2)
	v_add_co_u32 v14, vcc_lo, v14, v4
	s_wait_alu 0xfffd
	v_add_co_ci_u32_e64 v15, null, v15, v5, vcc_lo
	global_load_b64 v[14:15], v[14:15], off
	s_wait_loadcnt 0x0
	v_mul_f64_e32 v[12:13], v[12:13], v[14:15]
.LBB4_17:                               ;   in Loop: Header=BB4_5 Depth=1
	s_and_saveexec_b32 s28, s1
	s_cbranch_execz .LBB4_2
; %bb.18:                               ;   in Loop: Header=BB4_5 Depth=1
	v_add_co_u32 v14, vcc_lo, v24, s26
	s_wait_alu 0xfffd
	v_add_co_ci_u32_e64 v15, null, s27, v25, vcc_lo
	v_mov_b32_e32 v16, v0
	s_add_nc_u64 s[18:19], s[10:11], s[18:19]
	s_mov_b32 s26, 0
.LBB4_19:                               ;   Parent Loop BB4_5 Depth=1
                                        ; =>  This Inner Loop Header: Depth=2
	global_load_b64 v[17:18], v[14:15], off
	global_load_b64 v[28:29], v27, s[18:19]
	v_add_nc_u32_e32 v16, -1, v16
	v_add_co_u32 v14, s3, v14, 8
	s_wait_alu 0xf1ff
	v_add_co_ci_u32_e64 v15, null, 0, v15, s3
	s_delay_alu instid0(VALU_DEP_3)
	v_cmp_eq_u32_e32 vcc_lo, 0, v16
	s_wait_alu 0xfffe
	s_add_nc_u64 s[18:19], s[18:19], s[12:13]
	s_or_b32 s26, vcc_lo, s26
	s_wait_loadcnt 0x0
	v_fma_f64 v[12:13], v[17:18], v[28:29], v[12:13]
	s_wait_alu 0xfffe
	s_and_not1_b32 exec_lo, exec_lo, s26
	s_cbranch_execnz .LBB4_19
; %bb.20:                               ;   in Loop: Header=BB4_5 Depth=1
	s_or_b32 exec_lo, exec_lo, s26
	s_branch .LBB4_2
.LBB4_21:
	s_endpgm
	.section	.rodata,"a",@progbits
	.p2align	6, 0x0
	.amdhsa_kernel _ZL20rocblas_tpmvt_kernelILi512EPKdPdS2_EvbbiT0_llT1_lllT2_li
		.amdhsa_group_segment_fixed_size 0
		.amdhsa_private_segment_fixed_size 0
		.amdhsa_kernarg_size 344
		.amdhsa_user_sgpr_count 2
		.amdhsa_user_sgpr_dispatch_ptr 0
		.amdhsa_user_sgpr_queue_ptr 0
		.amdhsa_user_sgpr_kernarg_segment_ptr 1
		.amdhsa_user_sgpr_dispatch_id 0
		.amdhsa_user_sgpr_private_segment_size 0
		.amdhsa_wavefront_size32 1
		.amdhsa_uses_dynamic_stack 0
		.amdhsa_enable_private_segment 0
		.amdhsa_system_sgpr_workgroup_id_x 1
		.amdhsa_system_sgpr_workgroup_id_y 0
		.amdhsa_system_sgpr_workgroup_id_z 1
		.amdhsa_system_sgpr_workgroup_info 0
		.amdhsa_system_vgpr_workitem_id 0
		.amdhsa_next_free_vgpr 33
		.amdhsa_next_free_sgpr 36
		.amdhsa_reserve_vcc 1
		.amdhsa_float_round_mode_32 0
		.amdhsa_float_round_mode_16_64 0
		.amdhsa_float_denorm_mode_32 3
		.amdhsa_float_denorm_mode_16_64 3
		.amdhsa_fp16_overflow 0
		.amdhsa_workgroup_processor_mode 1
		.amdhsa_memory_ordered 1
		.amdhsa_forward_progress 1
		.amdhsa_inst_pref_size 11
		.amdhsa_round_robin_scheduling 0
		.amdhsa_exception_fp_ieee_invalid_op 0
		.amdhsa_exception_fp_denorm_src 0
		.amdhsa_exception_fp_ieee_div_zero 0
		.amdhsa_exception_fp_ieee_overflow 0
		.amdhsa_exception_fp_ieee_underflow 0
		.amdhsa_exception_fp_ieee_inexact 0
		.amdhsa_exception_int_div_zero 0
	.end_amdhsa_kernel
	.section	.text._ZL20rocblas_tpmvt_kernelILi512EPKdPdS2_EvbbiT0_llT1_lllT2_li,"axG",@progbits,_ZL20rocblas_tpmvt_kernelILi512EPKdPdS2_EvbbiT0_llT1_lllT2_li,comdat
.Lfunc_end4:
	.size	_ZL20rocblas_tpmvt_kernelILi512EPKdPdS2_EvbbiT0_llT1_lllT2_li, .Lfunc_end4-_ZL20rocblas_tpmvt_kernelILi512EPKdPdS2_EvbbiT0_llT1_lllT2_li
                                        ; -- End function
	.set _ZL20rocblas_tpmvt_kernelILi512EPKdPdS2_EvbbiT0_llT1_lllT2_li.num_vgpr, 33
	.set _ZL20rocblas_tpmvt_kernelILi512EPKdPdS2_EvbbiT0_llT1_lllT2_li.num_agpr, 0
	.set _ZL20rocblas_tpmvt_kernelILi512EPKdPdS2_EvbbiT0_llT1_lllT2_li.numbered_sgpr, 36
	.set _ZL20rocblas_tpmvt_kernelILi512EPKdPdS2_EvbbiT0_llT1_lllT2_li.num_named_barrier, 0
	.set _ZL20rocblas_tpmvt_kernelILi512EPKdPdS2_EvbbiT0_llT1_lllT2_li.private_seg_size, 0
	.set _ZL20rocblas_tpmvt_kernelILi512EPKdPdS2_EvbbiT0_llT1_lllT2_li.uses_vcc, 1
	.set _ZL20rocblas_tpmvt_kernelILi512EPKdPdS2_EvbbiT0_llT1_lllT2_li.uses_flat_scratch, 0
	.set _ZL20rocblas_tpmvt_kernelILi512EPKdPdS2_EvbbiT0_llT1_lllT2_li.has_dyn_sized_stack, 0
	.set _ZL20rocblas_tpmvt_kernelILi512EPKdPdS2_EvbbiT0_llT1_lllT2_li.has_recursion, 0
	.set _ZL20rocblas_tpmvt_kernelILi512EPKdPdS2_EvbbiT0_llT1_lllT2_li.has_indirect_call, 0
	.section	.AMDGPU.csdata,"",@progbits
; Kernel info:
; codeLenInByte = 1312
; TotalNumSgprs: 38
; NumVgprs: 33
; ScratchSize: 0
; MemoryBound: 0
; FloatMode: 240
; IeeeMode: 1
; LDSByteSize: 0 bytes/workgroup (compile time only)
; SGPRBlocks: 0
; VGPRBlocks: 4
; NumSGPRsForWavesPerEU: 38
; NumVGPRsForWavesPerEU: 33
; Occupancy: 16
; WaveLimiterHint : 0
; COMPUTE_PGM_RSRC2:SCRATCH_EN: 0
; COMPUTE_PGM_RSRC2:USER_SGPR: 2
; COMPUTE_PGM_RSRC2:TRAP_HANDLER: 0
; COMPUTE_PGM_RSRC2:TGID_X_EN: 1
; COMPUTE_PGM_RSRC2:TGID_Y_EN: 0
; COMPUTE_PGM_RSRC2:TGID_Z_EN: 1
; COMPUTE_PGM_RSRC2:TIDIG_COMP_CNT: 0
	.section	.text._ZL20rocblas_tpmvc_kernelILi512EPKdPdS2_EvbbiT0_llT1_lllT2_li,"axG",@progbits,_ZL20rocblas_tpmvc_kernelILi512EPKdPdS2_EvbbiT0_llT1_lllT2_li,comdat
	.globl	_ZL20rocblas_tpmvc_kernelILi512EPKdPdS2_EvbbiT0_llT1_lllT2_li ; -- Begin function _ZL20rocblas_tpmvc_kernelILi512EPKdPdS2_EvbbiT0_llT1_lllT2_li
	.p2align	8
	.type	_ZL20rocblas_tpmvc_kernelILi512EPKdPdS2_EvbbiT0_llT1_lllT2_li,@function
_ZL20rocblas_tpmvc_kernelILi512EPKdPdS2_EvbbiT0_llT1_lllT2_li: ; @_ZL20rocblas_tpmvc_kernelILi512EPKdPdS2_EvbbiT0_llT1_lllT2_li
; %bb.0:
	s_load_b32 s30, s[0:1], 0x50
	s_lshr_b32 s20, ttmp7, 16
	s_wait_kmcnt 0x0
	s_cmp_ge_u32 s20, s30
	s_cbranch_scc1 .LBB5_21
; %bb.1:
	s_clause 0x4
	s_load_b32 s2, s[0:1], 0x0
	s_load_b64 s[22:23], s[0:1], 0x0
	s_load_b32 s3, s[0:1], 0x64
	s_load_b512 s[4:19], s[0:1], 0x8
	s_load_b64 s[24:25], s[0:1], 0x48
	s_mov_b32 s21, 0
	v_mov_b32_e32 v27, 0
	s_wait_kmcnt 0x0
	s_bitcmp1_b32 s2, 0
	s_cselect_b32 s0, -1, 0
	s_delay_alu instid0(SALU_CYCLE_1)
	s_xor_b32 s31, s0, -1
	s_bitcmp1_b32 s22, 8
	s_mov_b32 s0, s23
	s_cselect_b32 s22, -1, 0
	s_and_b32 s1, s3, 0xffff
	s_lshl_b64 s[12:13], s[12:13], 3
	v_mad_co_u64_u32 v[0:1], null, ttmp9, s1, v[0:1]
	s_ashr_i32 s1, s23, 31
	s_add_nc_u64 s[10:11], s[10:11], s[12:13]
	s_wait_alu 0xfffe
	s_lshl_b64 s[0:1], s[0:1], 3
	s_lshl_b64 s[2:3], s[6:7], 3
	s_wait_alu 0xfffe
	s_add_nc_u64 s[12:13], s[0:1], -8
	s_add_nc_u64 s[6:7], s[4:5], s[2:3]
	v_ashrrev_i32_e32 v1, 31, v0
	v_add_co_u32 v3, vcc_lo, v0, -1
	v_add_nc_u32_e32 v2, 1, v0
	v_mul_lo_u32 v21, s15, v0
	s_delay_alu instid0(VALU_DEP_4) | instskip(NEXT) | instid1(VALU_DEP_4)
	v_add_co_ci_u32_e64 v4, null, -1, v1, vcc_lo
	v_mul_lo_u32 v18, v3, v1
	s_delay_alu instid0(VALU_DEP_4) | instskip(SKIP_1) | instid1(VALU_DEP_4)
	v_mad_co_u64_u32 v[12:13], null, v2, v0, 0
	v_mad_co_u64_u32 v[14:15], null, v3, v0, 0
	v_mul_lo_u32 v19, v4, v0
	v_mad_co_u64_u32 v[6:7], null, s14, v0, 0
	v_mul_lo_u32 v22, s14, v1
	v_lshlrev_b64_e32 v[4:5], 3, v[0:1]
	v_mul_lo_u32 v25, s12, v1
	v_mad_co_i64_i32 v[8:9], null, v0, s23, 0
	v_add3_u32 v15, v15, v18, v19
	v_mad_co_u64_u32 v[18:19], null, v2, v1, v[13:14]
	v_mul_lo_u32 v23, s13, v0
	v_mad_co_u64_u32 v[10:11], null, s12, v0, s[2:3]
	s_delay_alu instid0(VALU_DEP_4)
	v_lshrrev_b64 v[14:15], 1, v[14:15]
	v_add3_u32 v7, v7, v22, v21
	s_xor_b32 s22, s22, -1
	v_mov_b32_e32 v13, v18
	v_ashrrev_i32_e32 v3, 31, v2
	v_mul_lo_u32 v24, s15, v2
	v_mad_co_u64_u32 v[19:20], null, s14, v2, 0
	v_sub_co_u32 v8, vcc_lo, v8, v14
	s_delay_alu instid0(VALU_DEP_4)
	v_mul_lo_u32 v1, s14, v3
	v_lshlrev_b64_e32 v[21:22], 3, v[2:3]
	v_add3_u32 v11, v23, v11, v25
	s_wait_alu 0xfffd
	v_sub_co_ci_u32_e64 v9, null, v9, v15, vcc_lo
	v_mad_co_i64_i32 v[16:17], null, v2, v0, 0
	v_lshlrev_b64_e32 v[12:13], 2, v[12:13]
	v_add3_u32 v20, v20, v1, v24
	v_add_co_u32 v1, vcc_lo, s18, v4
	s_wait_alu 0xfffd
	v_add_co_ci_u32_e64 v3, null, s19, v5, vcc_lo
	s_delay_alu instid0(VALU_DEP_3) | instskip(SKIP_4) | instid1(VALU_DEP_4)
	v_lshlrev_b64_e32 v[18:19], 3, v[19:20]
	v_add_co_u32 v23, vcc_lo, v10, v21
	s_wait_alu 0xfffd
	v_add_co_ci_u32_e64 v22, null, v11, v22, vcc_lo
	v_lshlrev_b64_e32 v[10:11], 3, v[14:15]
	v_add_co_u32 v20, vcc_lo, s10, v18
	s_wait_alu 0xfffd
	v_add_co_ci_u32_e64 v21, null, s11, v19, vcc_lo
	v_lshrrev_b64 v[16:17], 1, v[16:17]
	s_delay_alu instid0(VALU_DEP_4) | instskip(SKIP_3) | instid1(VALU_DEP_3)
	v_sub_co_u32 v10, vcc_lo, v23, v10
	s_wait_alu 0xfffd
	v_sub_co_ci_u32_e64 v11, null, v22, v11, vcc_lo
	v_and_b32_e32 v12, -8, v12
	v_add_co_u32 v22, vcc_lo, s4, v10
	s_wait_alu 0xfffd
	s_delay_alu instid0(VALU_DEP_3) | instskip(NEXT) | instid1(VALU_DEP_3)
	v_add_co_ci_u32_e64 v23, null, s5, v11, vcc_lo
	v_add_co_u32 v24, vcc_lo, s6, v12
	v_lshlrev_b64_e32 v[6:7], 3, v[6:7]
	v_lshlrev_b64_e32 v[8:9], 3, v[8:9]
	;; [unrolled: 1-line block ×3, first 2 shown]
	v_cmp_gt_i32_e64 s0, s23, v0
	v_cmp_lt_i32_e64 s1, 0, v0
	v_cmp_gt_i32_e64 s2, s23, v2
	s_wait_alu 0xfffd
	v_add_co_ci_u32_e64 v25, null, s7, v13, vcc_lo
	s_wait_alu 0xfffe
	v_cndmask_b32_e64 v26, 0, 1, s22
	s_lshl_b64 s[4:5], s[16:17], 3
	s_lshl_b64 s[12:13], s[14:15], 3
	;; [unrolled: 1-line block ×3, first 2 shown]
	s_branch .LBB5_5
.LBB5_2:                                ;   in Loop: Header=BB5_5 Depth=1
	s_wait_alu 0xfffe
	s_or_b32 exec_lo, exec_lo, s28
	s_wait_loadcnt 0x0
	s_delay_alu instid0(VALU_DEP_1)
	v_dual_mov_b32 v15, v13 :: v_dual_mov_b32 v14, v12
.LBB5_3:                                ;   in Loop: Header=BB5_5 Depth=1
	s_mul_u64 s[18:19], s[24:25], s[20:21]
	s_wait_alu 0xfffe
	s_lshl_b64 s[18:19], s[18:19], 3
	s_wait_loadcnt 0x0
	s_wait_alu 0xfffe
	v_add_co_u32 v12, vcc_lo, v1, s18
	s_wait_alu 0xfffd
	v_add_co_ci_u32_e64 v13, null, s19, v3, vcc_lo
	global_store_b64 v[12:13], v[14:15], off
.LBB5_4:                                ;   in Loop: Header=BB5_5 Depth=1
	s_or_b32 exec_lo, exec_lo, s33
	s_add_co_i32 s20, s20, 0x10000
	s_delay_alu instid0(SALU_CYCLE_1)
	s_cmp_lt_u32 s20, s30
	s_cbranch_scc0 .LBB5_21
.LBB5_5:                                ; =>This Loop Header: Depth=1
                                        ;     Child Loop BB5_11 Depth 2
                                        ;     Child Loop BB5_19 Depth 2
	s_and_saveexec_b32 s33, s0
	s_cbranch_execz .LBB5_4
; %bb.6:                                ;   in Loop: Header=BB5_5 Depth=1
	s_mul_u64 s[18:19], s[16:17], s[20:21]
	v_cmp_ne_u32_e64 s3, 1, v26
	s_wait_alu 0xfffe
	s_lshl_b64 s[18:19], s[18:19], 3
	s_mul_u64 s[26:27], s[14:15], s[20:21]
	s_wait_alu 0xfffe
	s_add_nc_u64 s[18:19], s[10:11], s[18:19]
	s_mov_b32 s34, -1
	s_wait_alu 0xfffe
	v_add_co_u32 v12, vcc_lo, s18, v6
	s_wait_alu 0xfffd
	v_add_co_ci_u32_e64 v13, null, s19, v7, vcc_lo
	s_mul_u64 s[18:19], s[8:9], s[20:21]
	s_and_b32 vcc_lo, exec_lo, s31
	s_wait_alu 0xfffe
	s_lshl_b64 s[28:29], s[18:19], 3
	global_load_b64 v[12:13], v[12:13], off
	s_mul_u64 s[18:19], s[4:5], s[20:21]
	s_wait_alu 0xfffe
	s_add_nc_u64 s[28:29], s[6:7], s[28:29]
                                        ; implicit-def: $vgpr14_vgpr15
	s_cbranch_vccz .LBB5_14
; %bb.7:                                ;   in Loop: Header=BB5_5 Depth=1
	s_wait_loadcnt 0x0
	v_dual_mov_b32 v15, v13 :: v_dual_mov_b32 v14, v12
	s_and_b32 vcc_lo, exec_lo, s3
	s_wait_alu 0xfffe
	s_cbranch_vccnz .LBB5_9
; %bb.8:                                ;   in Loop: Header=BB5_5 Depth=1
	v_add_co_u32 v14, vcc_lo, s28, v8
	s_wait_alu 0xfffd
	v_add_co_ci_u32_e64 v15, null, s29, v9, vcc_lo
	global_load_b64 v[14:15], v[14:15], off
	s_wait_loadcnt 0x0
	v_mul_f64_e32 v[14:15], v[12:13], v[14:15]
.LBB5_9:                                ;   in Loop: Header=BB5_5 Depth=1
	s_and_saveexec_b32 s34, s2
	s_cbranch_execz .LBB5_13
; %bb.10:                               ;   in Loop: Header=BB5_5 Depth=1
	v_add_co_u32 v16, vcc_lo, v20, s18
	s_wait_alu 0xfffd
	v_add_co_ci_u32_e64 v17, null, s19, v21, vcc_lo
	v_add_co_u32 v18, vcc_lo, v22, s26
	s_wait_alu 0xfffd
	v_add_co_ci_u32_e64 v19, null, s27, v23, vcc_lo
	v_mov_b32_e32 v28, v2
	s_mov_b32 s35, 0
.LBB5_11:                               ;   Parent Loop BB5_5 Depth=1
                                        ; =>  This Inner Loop Header: Depth=2
	global_load_b64 v[29:30], v[18:19], off
	global_load_b64 v[31:32], v[16:17], off
	v_add_nc_u32_e32 v28, 1, v28
	v_add_co_u32 v16, vcc_lo, v16, s12
	s_wait_alu 0xfffd
	v_add_co_ci_u32_e64 v17, null, s13, v17, vcc_lo
	s_delay_alu instid0(VALU_DEP_3)
	v_cmp_le_i32_e32 vcc_lo, s23, v28
	v_add_co_u32 v18, s3, v18, 8
	s_wait_alu 0xf1ff
	v_add_co_ci_u32_e64 v19, null, 0, v19, s3
	s_or_b32 s35, vcc_lo, s35
	s_wait_loadcnt 0x0
	v_fma_f64 v[14:15], v[29:30], v[31:32], v[14:15]
	s_and_not1_b32 exec_lo, exec_lo, s35
	s_cbranch_execnz .LBB5_11
; %bb.12:                               ;   in Loop: Header=BB5_5 Depth=1
	s_or_b32 exec_lo, exec_lo, s35
.LBB5_13:                               ;   in Loop: Header=BB5_5 Depth=1
	s_delay_alu instid0(SALU_CYCLE_1)
	s_or_b32 exec_lo, exec_lo, s34
	s_mov_b32 s34, 0
.LBB5_14:                               ;   in Loop: Header=BB5_5 Depth=1
	s_delay_alu instid0(SALU_CYCLE_1)
	s_and_b32 vcc_lo, exec_lo, s34
	s_wait_alu 0xfffe
	s_cbranch_vccz .LBB5_3
; %bb.15:                               ;   in Loop: Header=BB5_5 Depth=1
	s_and_not1_b32 vcc_lo, exec_lo, s22
	s_wait_alu 0xfffe
	s_cbranch_vccnz .LBB5_17
; %bb.16:                               ;   in Loop: Header=BB5_5 Depth=1
	v_add_co_u32 v14, vcc_lo, s28, v10
	s_wait_alu 0xfffd
	v_add_co_ci_u32_e64 v15, null, s29, v11, vcc_lo
	s_delay_alu instid0(VALU_DEP_2) | instskip(SKIP_1) | instid1(VALU_DEP_2)
	v_add_co_u32 v14, vcc_lo, v14, v4
	s_wait_alu 0xfffd
	v_add_co_ci_u32_e64 v15, null, v15, v5, vcc_lo
	global_load_b64 v[14:15], v[14:15], off
	s_wait_loadcnt 0x0
	v_mul_f64_e32 v[12:13], v[12:13], v[14:15]
.LBB5_17:                               ;   in Loop: Header=BB5_5 Depth=1
	s_and_saveexec_b32 s28, s1
	s_cbranch_execz .LBB5_2
; %bb.18:                               ;   in Loop: Header=BB5_5 Depth=1
	v_add_co_u32 v14, vcc_lo, v24, s26
	s_wait_alu 0xfffd
	v_add_co_ci_u32_e64 v15, null, s27, v25, vcc_lo
	v_mov_b32_e32 v16, v0
	s_add_nc_u64 s[18:19], s[10:11], s[18:19]
	s_mov_b32 s26, 0
.LBB5_19:                               ;   Parent Loop BB5_5 Depth=1
                                        ; =>  This Inner Loop Header: Depth=2
	global_load_b64 v[17:18], v[14:15], off
	global_load_b64 v[28:29], v27, s[18:19]
	v_add_nc_u32_e32 v16, -1, v16
	v_add_co_u32 v14, s3, v14, 8
	s_wait_alu 0xf1ff
	v_add_co_ci_u32_e64 v15, null, 0, v15, s3
	s_delay_alu instid0(VALU_DEP_3)
	v_cmp_eq_u32_e32 vcc_lo, 0, v16
	s_wait_alu 0xfffe
	s_add_nc_u64 s[18:19], s[18:19], s[12:13]
	s_or_b32 s26, vcc_lo, s26
	s_wait_loadcnt 0x0
	v_fma_f64 v[12:13], v[17:18], v[28:29], v[12:13]
	s_wait_alu 0xfffe
	s_and_not1_b32 exec_lo, exec_lo, s26
	s_cbranch_execnz .LBB5_19
; %bb.20:                               ;   in Loop: Header=BB5_5 Depth=1
	s_or_b32 exec_lo, exec_lo, s26
	s_branch .LBB5_2
.LBB5_21:
	s_endpgm
	.section	.rodata,"a",@progbits
	.p2align	6, 0x0
	.amdhsa_kernel _ZL20rocblas_tpmvc_kernelILi512EPKdPdS2_EvbbiT0_llT1_lllT2_li
		.amdhsa_group_segment_fixed_size 0
		.amdhsa_private_segment_fixed_size 0
		.amdhsa_kernarg_size 344
		.amdhsa_user_sgpr_count 2
		.amdhsa_user_sgpr_dispatch_ptr 0
		.amdhsa_user_sgpr_queue_ptr 0
		.amdhsa_user_sgpr_kernarg_segment_ptr 1
		.amdhsa_user_sgpr_dispatch_id 0
		.amdhsa_user_sgpr_private_segment_size 0
		.amdhsa_wavefront_size32 1
		.amdhsa_uses_dynamic_stack 0
		.amdhsa_enable_private_segment 0
		.amdhsa_system_sgpr_workgroup_id_x 1
		.amdhsa_system_sgpr_workgroup_id_y 0
		.amdhsa_system_sgpr_workgroup_id_z 1
		.amdhsa_system_sgpr_workgroup_info 0
		.amdhsa_system_vgpr_workitem_id 0
		.amdhsa_next_free_vgpr 33
		.amdhsa_next_free_sgpr 36
		.amdhsa_reserve_vcc 1
		.amdhsa_float_round_mode_32 0
		.amdhsa_float_round_mode_16_64 0
		.amdhsa_float_denorm_mode_32 3
		.amdhsa_float_denorm_mode_16_64 3
		.amdhsa_fp16_overflow 0
		.amdhsa_workgroup_processor_mode 1
		.amdhsa_memory_ordered 1
		.amdhsa_forward_progress 1
		.amdhsa_inst_pref_size 11
		.amdhsa_round_robin_scheduling 0
		.amdhsa_exception_fp_ieee_invalid_op 0
		.amdhsa_exception_fp_denorm_src 0
		.amdhsa_exception_fp_ieee_div_zero 0
		.amdhsa_exception_fp_ieee_overflow 0
		.amdhsa_exception_fp_ieee_underflow 0
		.amdhsa_exception_fp_ieee_inexact 0
		.amdhsa_exception_int_div_zero 0
	.end_amdhsa_kernel
	.section	.text._ZL20rocblas_tpmvc_kernelILi512EPKdPdS2_EvbbiT0_llT1_lllT2_li,"axG",@progbits,_ZL20rocblas_tpmvc_kernelILi512EPKdPdS2_EvbbiT0_llT1_lllT2_li,comdat
.Lfunc_end5:
	.size	_ZL20rocblas_tpmvc_kernelILi512EPKdPdS2_EvbbiT0_llT1_lllT2_li, .Lfunc_end5-_ZL20rocblas_tpmvc_kernelILi512EPKdPdS2_EvbbiT0_llT1_lllT2_li
                                        ; -- End function
	.set _ZL20rocblas_tpmvc_kernelILi512EPKdPdS2_EvbbiT0_llT1_lllT2_li.num_vgpr, 33
	.set _ZL20rocblas_tpmvc_kernelILi512EPKdPdS2_EvbbiT0_llT1_lllT2_li.num_agpr, 0
	.set _ZL20rocblas_tpmvc_kernelILi512EPKdPdS2_EvbbiT0_llT1_lllT2_li.numbered_sgpr, 36
	.set _ZL20rocblas_tpmvc_kernelILi512EPKdPdS2_EvbbiT0_llT1_lllT2_li.num_named_barrier, 0
	.set _ZL20rocblas_tpmvc_kernelILi512EPKdPdS2_EvbbiT0_llT1_lllT2_li.private_seg_size, 0
	.set _ZL20rocblas_tpmvc_kernelILi512EPKdPdS2_EvbbiT0_llT1_lllT2_li.uses_vcc, 1
	.set _ZL20rocblas_tpmvc_kernelILi512EPKdPdS2_EvbbiT0_llT1_lllT2_li.uses_flat_scratch, 0
	.set _ZL20rocblas_tpmvc_kernelILi512EPKdPdS2_EvbbiT0_llT1_lllT2_li.has_dyn_sized_stack, 0
	.set _ZL20rocblas_tpmvc_kernelILi512EPKdPdS2_EvbbiT0_llT1_lllT2_li.has_recursion, 0
	.set _ZL20rocblas_tpmvc_kernelILi512EPKdPdS2_EvbbiT0_llT1_lllT2_li.has_indirect_call, 0
	.section	.AMDGPU.csdata,"",@progbits
; Kernel info:
; codeLenInByte = 1312
; TotalNumSgprs: 38
; NumVgprs: 33
; ScratchSize: 0
; MemoryBound: 0
; FloatMode: 240
; IeeeMode: 1
; LDSByteSize: 0 bytes/workgroup (compile time only)
; SGPRBlocks: 0
; VGPRBlocks: 4
; NumSGPRsForWavesPerEU: 38
; NumVGPRsForWavesPerEU: 33
; Occupancy: 16
; WaveLimiterHint : 0
; COMPUTE_PGM_RSRC2:SCRATCH_EN: 0
; COMPUTE_PGM_RSRC2:USER_SGPR: 2
; COMPUTE_PGM_RSRC2:TRAP_HANDLER: 0
; COMPUTE_PGM_RSRC2:TGID_X_EN: 1
; COMPUTE_PGM_RSRC2:TGID_Y_EN: 0
; COMPUTE_PGM_RSRC2:TGID_Z_EN: 1
; COMPUTE_PGM_RSRC2:TIDIG_COMP_CNT: 0
	.section	.text._ZL20rocblas_tpmvn_kernelILi512EPK19rocblas_complex_numIfEPS1_S4_EvbbiT0_llT1_lllT2_li,"axG",@progbits,_ZL20rocblas_tpmvn_kernelILi512EPK19rocblas_complex_numIfEPS1_S4_EvbbiT0_llT1_lllT2_li,comdat
	.globl	_ZL20rocblas_tpmvn_kernelILi512EPK19rocblas_complex_numIfEPS1_S4_EvbbiT0_llT1_lllT2_li ; -- Begin function _ZL20rocblas_tpmvn_kernelILi512EPK19rocblas_complex_numIfEPS1_S4_EvbbiT0_llT1_lllT2_li
	.p2align	8
	.type	_ZL20rocblas_tpmvn_kernelILi512EPK19rocblas_complex_numIfEPS1_S4_EvbbiT0_llT1_lllT2_li,@function
_ZL20rocblas_tpmvn_kernelILi512EPK19rocblas_complex_numIfEPS1_S4_EvbbiT0_llT1_lllT2_li: ; @_ZL20rocblas_tpmvn_kernelILi512EPK19rocblas_complex_numIfEPS1_S4_EvbbiT0_llT1_lllT2_li
; %bb.0:
	s_load_b32 s33, s[0:1], 0x50
	s_lshr_b32 s20, ttmp7, 16
	s_wait_kmcnt 0x0
	s_cmp_ge_u32 s20, s33
	s_cbranch_scc1 .LBB6_21
; %bb.1:
	s_clause 0x4
	s_load_b32 s2, s[0:1], 0x0
	s_load_b64 s[22:23], s[0:1], 0x0
	s_load_b32 s3, s[0:1], 0x64
	s_load_b512 s[4:19], s[0:1], 0x8
	s_load_b64 s[24:25], s[0:1], 0x48
	v_mov_b32_e32 v26, 0
	s_mov_b32 s21, 0
	s_wait_kmcnt 0x0
	s_bitcmp1_b32 s2, 0
	s_mov_b32 s26, s23
	s_cselect_b32 s2, -1, 0
	s_delay_alu instid0(SALU_CYCLE_1)
	s_xor_b32 s40, s2, -1
	s_bitcmp1_b32 s22, 8
	s_cselect_b32 s22, -1, 0
	s_and_b32 s0, s3, 0xffff
	s_lshl_b64 s[2:3], s[12:13], 3
	v_mad_co_u64_u32 v[0:1], null, ttmp9, s0, v[0:1]
	s_lshl_b64 s[0:1], s[6:7], 3
	s_add_nc_u64 s[6:7], s[10:11], s[2:3]
	s_xor_b32 s22, s22, -1
	s_wait_alu 0xfffe
	s_add_nc_u64 s[4:5], s[4:5], s[0:1]
	v_cndmask_b32_e64 v25, 0, 1, s22
	s_ashr_i32 s27, s23, 31
	v_add_nc_u32_e32 v2, 1, v0
	v_ashrrev_i32_e32 v1, 31, v0
	v_add_co_u32 v5, vcc_lo, v0, -1
	v_mad_co_i64_i32 v[10:11], null, v0, s23, 0
	s_delay_alu instid0(VALU_DEP_4) | instskip(NEXT) | instid1(VALU_DEP_4)
	v_ashrrev_i32_e32 v3, 31, v2
	v_add_co_ci_u32_e64 v6, null, -1, v1, vcc_lo
	v_mul_lo_u32 v7, s15, v2
	v_mad_co_u64_u32 v[12:13], null, s14, v2, 0
	s_delay_alu instid0(VALU_DEP_4)
	v_mul_lo_u32 v20, s14, v3
	v_mul_lo_u32 v21, v5, v1
	v_mad_co_u64_u32 v[14:15], null, v5, v0, 0
	v_mul_lo_u32 v22, v6, v0
	v_mad_co_i64_i32 v[16:17], null, v2, v0, 0
	v_mul_lo_u32 v18, s15, v0
	v_add3_u32 v13, v13, v20, v7
	v_lshlrev_b64_e32 v[6:7], 3, v[0:1]
	v_mad_co_u64_u32 v[8:9], null, s14, v0, 0
	v_add3_u32 v15, v15, v21, v22
	s_delay_alu instid0(VALU_DEP_4) | instskip(SKIP_2) | instid1(VALU_DEP_4)
	v_lshlrev_b64_e32 v[12:13], 3, v[12:13]
	v_mul_lo_u32 v19, s14, v1
	v_add_co_u32 v1, vcc_lo, s18, v6
	v_lshrrev_b64 v[14:15], 1, v[14:15]
	s_wait_alu 0xfffd
	v_add_co_ci_u32_e64 v22, null, s19, v7, vcc_lo
	v_add_co_u32 v12, vcc_lo, s6, v12
	s_wait_alu 0xfffd
	v_add_co_ci_u32_e64 v13, null, s7, v13, vcc_lo
	v_sub_co_u32 v10, vcc_lo, v10, v14
	v_lshrrev_b64 v[16:17], 1, v[16:17]
	v_add3_u32 v9, v9, v19, v18
	s_wait_alu 0xfffd
	v_sub_co_ci_u32_e64 v11, null, v11, v15, vcc_lo
	v_add_nc_u32_e32 v4, 2, v0
	v_add_co_u32 v23, vcc_lo, v12, 4
	v_lshlrev_b64_e32 v[8:9], 3, v[8:9]
	s_wait_alu 0xfffd
	v_add_co_ci_u32_e64 v24, null, 0, v13, vcc_lo
	v_lshlrev_b64_e32 v[10:11], 3, v[10:11]
	v_lshlrev_b64_e32 v[12:13], 3, v[16:17]
	v_cmp_gt_i32_e64 s0, s23, v0
	v_cmp_lt_i32_e64 s1, 0, v0
	v_cmp_gt_i32_e64 s2, s23, v2
	v_ashrrev_i32_e32 v5, 31, v4
	s_add_nc_u64 s[10:11], s[6:7], 4
	s_lshl_b64 s[12:13], s[16:17], 3
	s_lshl_b64 s[14:15], s[14:15], 3
	s_branch .LBB6_5
.LBB6_2:                                ;   in Loop: Header=BB6_5 Depth=1
	s_or_b32 exec_lo, exec_lo, s3
	s_wait_loadcnt 0x0
	v_dual_mov_b32 v17, v15 :: v_dual_mov_b32 v16, v14
.LBB6_3:                                ;   in Loop: Header=BB6_5 Depth=1
	s_mul_u64 s[18:19], s[24:25], s[20:21]
	s_wait_alu 0xfffe
	s_lshl_b64 s[18:19], s[18:19], 3
	s_wait_loadcnt 0x0
	s_wait_alu 0xfffe
	v_add_co_u32 v14, vcc_lo, v1, s18
	s_wait_alu 0xfffd
	v_add_co_ci_u32_e64 v15, null, s19, v22, vcc_lo
	global_store_b64 v[14:15], v[16:17], off
.LBB6_4:                                ;   in Loop: Header=BB6_5 Depth=1
	s_or_b32 exec_lo, exec_lo, s41
	s_add_co_i32 s20, s20, 0x10000
	s_delay_alu instid0(SALU_CYCLE_1)
	s_cmp_lt_u32 s20, s33
	s_cbranch_scc0 .LBB6_21
.LBB6_5:                                ; =>This Loop Header: Depth=1
                                        ;     Child Loop BB6_11 Depth 2
                                        ;     Child Loop BB6_19 Depth 2
	s_and_saveexec_b32 s41, s0
	s_cbranch_execz .LBB6_4
; %bb.6:                                ;   in Loop: Header=BB6_5 Depth=1
	s_mul_u64 s[18:19], s[16:17], s[20:21]
	v_cmp_ne_u32_e64 s3, 1, v25
	s_wait_alu 0xfffe
	s_lshl_b64 s[18:19], s[18:19], 3
	s_mov_b32 s30, -1
	s_wait_alu 0xfffe
	s_add_nc_u64 s[18:19], s[6:7], s[18:19]
                                        ; implicit-def: $vgpr17
	s_wait_alu 0xfffe
	v_add_co_u32 v14, vcc_lo, s18, v8
	s_wait_alu 0xfffd
	v_add_co_ci_u32_e64 v15, null, s19, v9, vcc_lo
	s_mul_u64 s[18:19], s[8:9], s[20:21]
	s_and_b32 vcc_lo, exec_lo, s40
	s_wait_alu 0xfffe
	s_lshl_b64 s[28:29], s[18:19], 3
	global_load_b64 v[14:15], v[14:15], off
	s_mul_u64 s[18:19], s[12:13], s[20:21]
	s_wait_alu 0xfffe
	s_add_nc_u64 s[28:29], s[4:5], s[28:29]
	s_cbranch_vccz .LBB6_14
; %bb.7:                                ;   in Loop: Header=BB6_5 Depth=1
	s_wait_loadcnt 0x0
	v_dual_mov_b32 v16, v14 :: v_dual_mov_b32 v17, v15
	s_and_b32 vcc_lo, exec_lo, s3
	s_wait_alu 0xfffe
	s_cbranch_vccnz .LBB6_9
; %bb.8:                                ;   in Loop: Header=BB6_5 Depth=1
	v_add_co_u32 v16, vcc_lo, s28, v10
	s_wait_alu 0xfffd
	v_add_co_ci_u32_e64 v17, null, s29, v11, vcc_lo
	global_load_b64 v[18:19], v[16:17], off
	s_wait_loadcnt 0x0
	v_mul_f32_e32 v16, v15, v19
	v_mul_f32_e32 v17, v14, v19
	s_delay_alu instid0(VALU_DEP_2) | instskip(NEXT) | instid1(VALU_DEP_2)
	v_fma_f32 v16, v14, v18, -v16
	v_fmac_f32_e32 v17, v15, v18
.LBB6_9:                                ;   in Loop: Header=BB6_5 Depth=1
	s_and_saveexec_b32 s3, s1
	s_cbranch_execz .LBB6_13
; %bb.10:                               ;   in Loop: Header=BB6_5 Depth=1
	v_mov_b32_e32 v18, v0
	s_add_nc_u64 s[30:31], s[10:11], s[18:19]
	s_mov_b64 s[34:35], 0
	s_mov_b32 s42, 0
	s_mov_b64 s[38:39], 0
	s_mov_b64 s[36:37], 0
.LBB6_11:                               ;   Parent Loop BB6_5 Depth=1
                                        ; =>  This Inner Loop Header: Depth=2
	s_wait_alu 0xfffe
	v_add_co_u32 v19, s43, s36, v18
	s_wait_alu 0xf1ff
	v_add_co_ci_u32_e64 v20, null, s37, 0, s43
	s_lshr_b64 s[44:45], s[34:35], 1
	s_add_nc_u64 s[36:37], s[36:37], s[26:27]
	s_wait_alu 0xfffe
	v_sub_co_u32 v19, vcc_lo, v19, s44
	s_wait_alu 0xfffd
	v_subrev_co_ci_u32_e64 v20, null, s45, v20, vcc_lo
	s_add_nc_u64 s[44:45], s[38:39], 2
	s_add_nc_u64 s[34:35], s[34:35], s[38:39]
	s_wait_alu 0xfffe
	s_mov_b64 s[38:39], s[44:45]
	v_lshlrev_b64_e32 v[19:20], 3, v[19:20]
	v_add_nc_u32_e32 v18, -1, v18
	s_delay_alu instid0(VALU_DEP_2) | instskip(SKIP_1) | instid1(VALU_DEP_3)
	v_add_co_u32 v19, vcc_lo, s28, v19
	s_wait_alu 0xfffd
	v_add_co_ci_u32_e64 v20, null, s29, v20, vcc_lo
	global_load_b64 v[27:28], v26, s[30:31] offset:-4
	global_load_b64 v[19:20], v[19:20], off
	s_add_nc_u64 s[30:31], s[30:31], s[14:15]
	v_cmp_eq_u32_e32 vcc_lo, 0, v18
	s_or_b32 s42, vcc_lo, s42
	s_wait_loadcnt 0x0
	v_mul_f32_e32 v21, v28, v20
	v_mul_f32_e32 v20, v27, v20
	s_delay_alu instid0(VALU_DEP_2) | instskip(NEXT) | instid1(VALU_DEP_2)
	v_fma_f32 v21, v27, v19, -v21
	v_fmac_f32_e32 v20, v28, v19
	s_delay_alu instid0(VALU_DEP_1)
	v_dual_add_f32 v16, v16, v21 :: v_dual_add_f32 v17, v17, v20
	s_wait_alu 0xfffe
	s_and_not1_b32 exec_lo, exec_lo, s42
	s_cbranch_execnz .LBB6_11
; %bb.12:                               ;   in Loop: Header=BB6_5 Depth=1
	s_or_b32 exec_lo, exec_lo, s42
.LBB6_13:                               ;   in Loop: Header=BB6_5 Depth=1
	s_delay_alu instid0(SALU_CYCLE_1)
	s_or_b32 exec_lo, exec_lo, s3
	s_mov_b32 s30, 0
.LBB6_14:                               ;   in Loop: Header=BB6_5 Depth=1
	s_delay_alu instid0(SALU_CYCLE_1)
	s_and_b32 vcc_lo, exec_lo, s30
	s_wait_alu 0xfffe
	s_cbranch_vccz .LBB6_3
; %bb.15:                               ;   in Loop: Header=BB6_5 Depth=1
	s_and_not1_b32 vcc_lo, exec_lo, s22
	s_wait_alu 0xfffe
	s_cbranch_vccnz .LBB6_17
; %bb.16:                               ;   in Loop: Header=BB6_5 Depth=1
	v_add_co_u32 v16, vcc_lo, s28, v12
	s_wait_alu 0xfffd
	v_add_co_ci_u32_e64 v17, null, s29, v13, vcc_lo
	s_delay_alu instid0(VALU_DEP_2) | instskip(SKIP_1) | instid1(VALU_DEP_2)
	v_add_co_u32 v16, vcc_lo, v16, v6
	s_wait_alu 0xfffd
	v_add_co_ci_u32_e64 v17, null, v17, v7, vcc_lo
	global_load_b64 v[16:17], v[16:17], off
	s_wait_loadcnt 0x0
	v_mul_f32_e32 v18, v15, v17
	v_mul_f32_e32 v17, v14, v17
	s_delay_alu instid0(VALU_DEP_1) | instskip(NEXT) | instid1(VALU_DEP_1)
	v_fmac_f32_e32 v17, v15, v16
	v_mov_b32_e32 v15, v17
	s_delay_alu instid0(VALU_DEP_4)
	v_fma_f32 v14, v14, v16, -v18
.LBB6_17:                               ;   in Loop: Header=BB6_5 Depth=1
	s_and_saveexec_b32 s3, s2
	s_cbranch_execz .LBB6_2
; %bb.18:                               ;   in Loop: Header=BB6_5 Depth=1
	v_add_co_u32 v27, vcc_lo, s28, v6
	s_wait_alu 0xfffd
	v_add_co_ci_u32_e64 v28, null, s29, v7, vcc_lo
	v_add_co_u32 v16, vcc_lo, v23, s18
	s_wait_alu 0xfffd
	v_add_co_ci_u32_e64 v17, null, s19, v24, vcc_lo
	v_dual_mov_b32 v21, v3 :: v_dual_mov_b32 v20, v2
	v_dual_mov_b32 v19, v5 :: v_dual_mov_b32 v18, v4
	s_mov_b32 s18, 0
.LBB6_19:                               ;   Parent Loop BB6_5 Depth=1
                                        ; =>  This Inner Loop Header: Depth=2
	s_delay_alu instid0(VALU_DEP_1) | instskip(NEXT) | instid1(VALU_DEP_2)
	v_mul_lo_u32 v31, v19, v20
	v_mul_lo_u32 v32, v18, v21
	v_mad_co_u64_u32 v[29:30], null, v18, v20, 0
	s_delay_alu instid0(VALU_DEP_1) | instskip(NEXT) | instid1(VALU_DEP_1)
	v_add3_u32 v30, v30, v32, v31
	v_lshlrev_b64_e32 v[29:30], 2, v[29:30]
	s_delay_alu instid0(VALU_DEP_1) | instskip(NEXT) | instid1(VALU_DEP_1)
	v_and_b32_e32 v29, -8, v29
	v_add_co_u32 v29, vcc_lo, v27, v29
	s_wait_alu 0xfffd
	s_delay_alu instid0(VALU_DEP_3)
	v_add_co_ci_u32_e64 v30, null, v28, v30, vcc_lo
	global_load_b64 v[31:32], v[16:17], off offset:-4
	global_load_b64 v[29:30], v[29:30], off
	v_add_co_u32 v20, vcc_lo, v20, 1
	s_wait_alu 0xfffd
	v_add_co_ci_u32_e64 v21, null, 0, v21, vcc_lo
	v_add_co_u32 v18, vcc_lo, v18, 1
	s_wait_alu 0xfffd
	v_add_co_ci_u32_e64 v19, null, 0, v19, vcc_lo
	;; [unrolled: 3-line block ×3, first 2 shown]
	v_cmp_le_i32_e32 vcc_lo, s23, v20
	s_wait_alu 0xfffe
	s_or_b32 s18, vcc_lo, s18
	s_wait_loadcnt 0x0
	v_mul_f32_e32 v33, v32, v30
	v_mul_f32_e32 v30, v31, v30
	s_delay_alu instid0(VALU_DEP_2) | instskip(NEXT) | instid1(VALU_DEP_2)
	v_fma_f32 v31, v31, v29, -v33
	v_fmac_f32_e32 v30, v32, v29
	s_delay_alu instid0(VALU_DEP_1)
	v_dual_add_f32 v14, v14, v31 :: v_dual_add_f32 v15, v15, v30
	s_wait_alu 0xfffe
	s_and_not1_b32 exec_lo, exec_lo, s18
	s_cbranch_execnz .LBB6_19
; %bb.20:                               ;   in Loop: Header=BB6_5 Depth=1
	s_or_b32 exec_lo, exec_lo, s18
	s_branch .LBB6_2
.LBB6_21:
	s_endpgm
	.section	.rodata,"a",@progbits
	.p2align	6, 0x0
	.amdhsa_kernel _ZL20rocblas_tpmvn_kernelILi512EPK19rocblas_complex_numIfEPS1_S4_EvbbiT0_llT1_lllT2_li
		.amdhsa_group_segment_fixed_size 0
		.amdhsa_private_segment_fixed_size 0
		.amdhsa_kernarg_size 344
		.amdhsa_user_sgpr_count 2
		.amdhsa_user_sgpr_dispatch_ptr 0
		.amdhsa_user_sgpr_queue_ptr 0
		.amdhsa_user_sgpr_kernarg_segment_ptr 1
		.amdhsa_user_sgpr_dispatch_id 0
		.amdhsa_user_sgpr_private_segment_size 0
		.amdhsa_wavefront_size32 1
		.amdhsa_uses_dynamic_stack 0
		.amdhsa_enable_private_segment 0
		.amdhsa_system_sgpr_workgroup_id_x 1
		.amdhsa_system_sgpr_workgroup_id_y 0
		.amdhsa_system_sgpr_workgroup_id_z 1
		.amdhsa_system_sgpr_workgroup_info 0
		.amdhsa_system_vgpr_workitem_id 0
		.amdhsa_next_free_vgpr 34
		.amdhsa_next_free_sgpr 46
		.amdhsa_reserve_vcc 1
		.amdhsa_float_round_mode_32 0
		.amdhsa_float_round_mode_16_64 0
		.amdhsa_float_denorm_mode_32 3
		.amdhsa_float_denorm_mode_16_64 3
		.amdhsa_fp16_overflow 0
		.amdhsa_workgroup_processor_mode 1
		.amdhsa_memory_ordered 1
		.amdhsa_forward_progress 1
		.amdhsa_inst_pref_size 12
		.amdhsa_round_robin_scheduling 0
		.amdhsa_exception_fp_ieee_invalid_op 0
		.amdhsa_exception_fp_denorm_src 0
		.amdhsa_exception_fp_ieee_div_zero 0
		.amdhsa_exception_fp_ieee_overflow 0
		.amdhsa_exception_fp_ieee_underflow 0
		.amdhsa_exception_fp_ieee_inexact 0
		.amdhsa_exception_int_div_zero 0
	.end_amdhsa_kernel
	.section	.text._ZL20rocblas_tpmvn_kernelILi512EPK19rocblas_complex_numIfEPS1_S4_EvbbiT0_llT1_lllT2_li,"axG",@progbits,_ZL20rocblas_tpmvn_kernelILi512EPK19rocblas_complex_numIfEPS1_S4_EvbbiT0_llT1_lllT2_li,comdat
.Lfunc_end6:
	.size	_ZL20rocblas_tpmvn_kernelILi512EPK19rocblas_complex_numIfEPS1_S4_EvbbiT0_llT1_lllT2_li, .Lfunc_end6-_ZL20rocblas_tpmvn_kernelILi512EPK19rocblas_complex_numIfEPS1_S4_EvbbiT0_llT1_lllT2_li
                                        ; -- End function
	.set _ZL20rocblas_tpmvn_kernelILi512EPK19rocblas_complex_numIfEPS1_S4_EvbbiT0_llT1_lllT2_li.num_vgpr, 34
	.set _ZL20rocblas_tpmvn_kernelILi512EPK19rocblas_complex_numIfEPS1_S4_EvbbiT0_llT1_lllT2_li.num_agpr, 0
	.set _ZL20rocblas_tpmvn_kernelILi512EPK19rocblas_complex_numIfEPS1_S4_EvbbiT0_llT1_lllT2_li.numbered_sgpr, 46
	.set _ZL20rocblas_tpmvn_kernelILi512EPK19rocblas_complex_numIfEPS1_S4_EvbbiT0_llT1_lllT2_li.num_named_barrier, 0
	.set _ZL20rocblas_tpmvn_kernelILi512EPK19rocblas_complex_numIfEPS1_S4_EvbbiT0_llT1_lllT2_li.private_seg_size, 0
	.set _ZL20rocblas_tpmvn_kernelILi512EPK19rocblas_complex_numIfEPS1_S4_EvbbiT0_llT1_lllT2_li.uses_vcc, 1
	.set _ZL20rocblas_tpmvn_kernelILi512EPK19rocblas_complex_numIfEPS1_S4_EvbbiT0_llT1_lllT2_li.uses_flat_scratch, 0
	.set _ZL20rocblas_tpmvn_kernelILi512EPK19rocblas_complex_numIfEPS1_S4_EvbbiT0_llT1_lllT2_li.has_dyn_sized_stack, 0
	.set _ZL20rocblas_tpmvn_kernelILi512EPK19rocblas_complex_numIfEPS1_S4_EvbbiT0_llT1_lllT2_li.has_recursion, 0
	.set _ZL20rocblas_tpmvn_kernelILi512EPK19rocblas_complex_numIfEPS1_S4_EvbbiT0_llT1_lllT2_li.has_indirect_call, 0
	.section	.AMDGPU.csdata,"",@progbits
; Kernel info:
; codeLenInByte = 1424
; TotalNumSgprs: 48
; NumVgprs: 34
; ScratchSize: 0
; MemoryBound: 0
; FloatMode: 240
; IeeeMode: 1
; LDSByteSize: 0 bytes/workgroup (compile time only)
; SGPRBlocks: 0
; VGPRBlocks: 4
; NumSGPRsForWavesPerEU: 48
; NumVGPRsForWavesPerEU: 34
; Occupancy: 16
; WaveLimiterHint : 0
; COMPUTE_PGM_RSRC2:SCRATCH_EN: 0
; COMPUTE_PGM_RSRC2:USER_SGPR: 2
; COMPUTE_PGM_RSRC2:TRAP_HANDLER: 0
; COMPUTE_PGM_RSRC2:TGID_X_EN: 1
; COMPUTE_PGM_RSRC2:TGID_Y_EN: 0
; COMPUTE_PGM_RSRC2:TGID_Z_EN: 1
; COMPUTE_PGM_RSRC2:TIDIG_COMP_CNT: 0
	.section	.text._ZL20rocblas_tpmvt_kernelILi512EPK19rocblas_complex_numIfEPS1_S4_EvbbiT0_llT1_lllT2_li,"axG",@progbits,_ZL20rocblas_tpmvt_kernelILi512EPK19rocblas_complex_numIfEPS1_S4_EvbbiT0_llT1_lllT2_li,comdat
	.globl	_ZL20rocblas_tpmvt_kernelILi512EPK19rocblas_complex_numIfEPS1_S4_EvbbiT0_llT1_lllT2_li ; -- Begin function _ZL20rocblas_tpmvt_kernelILi512EPK19rocblas_complex_numIfEPS1_S4_EvbbiT0_llT1_lllT2_li
	.p2align	8
	.type	_ZL20rocblas_tpmvt_kernelILi512EPK19rocblas_complex_numIfEPS1_S4_EvbbiT0_llT1_lllT2_li,@function
_ZL20rocblas_tpmvt_kernelILi512EPK19rocblas_complex_numIfEPS1_S4_EvbbiT0_llT1_lllT2_li: ; @_ZL20rocblas_tpmvt_kernelILi512EPK19rocblas_complex_numIfEPS1_S4_EvbbiT0_llT1_lllT2_li
; %bb.0:
	s_load_b32 s33, s[0:1], 0x50
	s_lshr_b32 s20, ttmp7, 16
	s_wait_kmcnt 0x0
	s_cmp_ge_u32 s20, s33
	s_cbranch_scc1 .LBB7_21
; %bb.1:
	s_clause 0x4
	s_load_b32 s2, s[0:1], 0x0
	s_load_b64 s[22:23], s[0:1], 0x0
	s_load_b32 s3, s[0:1], 0x64
	s_load_b512 s[4:19], s[0:1], 0x8
	s_load_b64 s[24:25], s[0:1], 0x48
	s_mov_b32 s21, 0
	v_mov_b32_e32 v27, 0
	s_wait_kmcnt 0x0
	s_bitcmp1_b32 s2, 0
	s_cselect_b32 s2, -1, 0
	s_delay_alu instid0(SALU_CYCLE_1)
	s_xor_b32 s34, s2, -1
	s_bitcmp1_b32 s22, 8
	s_cselect_b32 s22, -1, 0
	s_and_b32 s0, s3, 0xffff
	s_ashr_i32 s1, s23, 31
	v_mad_co_u64_u32 v[0:1], null, ttmp9, s0, v[0:1]
	s_mov_b32 s0, s23
	s_lshl_b64 s[2:3], s[12:13], 3
	s_wait_alu 0xfffe
	s_lshl_b64 s[12:13], s[0:1], 3
	s_lshl_b64 s[26:27], s[6:7], 3
	s_add_nc_u64 s[12:13], s[12:13], -8
	s_add_nc_u64 s[10:11], s[10:11], s[2:3]
	v_ashrrev_i32_e32 v1, 31, v0
	v_add_co_u32 v3, vcc_lo, v0, -1
	v_add_nc_u32_e32 v2, 1, v0
	v_mul_lo_u32 v22, s15, v0
	s_delay_alu instid0(VALU_DEP_4) | instskip(NEXT) | instid1(VALU_DEP_4)
	v_add_co_ci_u32_e64 v4, null, -1, v1, vcc_lo
	v_mul_lo_u32 v18, v3, v1
	v_mad_co_u64_u32 v[10:11], null, v3, v0, 0
	v_mad_co_u64_u32 v[12:13], null, v2, v0, 0
	s_delay_alu instid0(VALU_DEP_4)
	v_mul_lo_u32 v19, v4, v0
	v_mad_co_i64_i32 v[14:15], null, v2, v0, 0
	v_mad_co_u64_u32 v[6:7], null, s14, v0, 0
	v_mul_lo_u32 v23, s14, v1
	v_mad_co_i64_i32 v[8:9], null, v0, s23, 0
	v_add3_u32 v11, v11, v18, v19
	v_mad_co_u64_u32 v[18:19], null, v2, v1, v[13:14]
	v_lshlrev_b64_e32 v[4:5], 3, v[0:1]
	v_lshrrev_b64 v[14:15], 1, v[14:15]
	s_delay_alu instid0(VALU_DEP_4)
	v_lshrrev_b64 v[10:11], 1, v[10:11]
	v_add3_u32 v7, v7, v23, v22
	v_mul_lo_u32 v22, s12, v1
	v_mul_lo_u32 v23, s13, v0
	v_mov_b32_e32 v13, v18
	v_ashrrev_i32_e32 v3, 31, v2
	v_mul_lo_u32 v24, s15, v2
	v_mad_co_u64_u32 v[16:17], null, s14, v2, 0
	v_add_co_u32 v20, vcc_lo, s18, v4
	s_delay_alu instid0(VALU_DEP_4)
	v_mul_lo_u32 v25, s14, v3
	v_mad_co_u64_u32 v[18:19], null, s12, v0, s[26:27]
	s_wait_alu 0xfffd
	v_add_co_ci_u32_e64 v21, null, s19, v5, vcc_lo
	v_sub_co_u32 v8, vcc_lo, v8, v10
	s_wait_alu 0xfffd
	v_sub_co_ci_u32_e64 v9, null, v9, v11, vcc_lo
	v_add3_u32 v17, v17, v25, v24
	v_add3_u32 v19, v23, v19, v22
	v_lshlrev_b64_e32 v[10:11], 3, v[10:11]
	v_lshlrev_b64_e32 v[12:13], 2, v[12:13]
	s_add_nc_u64 s[6:7], s[4:5], s[26:27]
	v_lshlrev_b64_e32 v[16:17], 3, v[16:17]
	s_xor_b32 s22, s22, -1
	v_lshlrev_b64_e32 v[6:7], 3, v[6:7]
	v_lshlrev_b64_e32 v[8:9], 3, v[8:9]
	v_and_b32_e32 v12, -8, v12
	v_cmp_gt_i32_e64 s0, s23, v0
	v_add_co_u32 v1, vcc_lo, s10, v16
	s_wait_alu 0xfffd
	v_add_co_ci_u32_e64 v24, null, s11, v17, vcc_lo
	v_lshlrev_b64_e32 v[16:17], 3, v[2:3]
	s_delay_alu instid0(VALU_DEP_3) | instskip(SKIP_1) | instid1(VALU_DEP_3)
	v_add_co_u32 v1, vcc_lo, v1, 4
	s_wait_alu 0xfffd
	v_add_co_ci_u32_e64 v3, null, 0, v24, vcc_lo
	v_cmp_lt_i32_e64 s1, 0, v0
	s_delay_alu instid0(VALU_DEP_4) | instskip(SKIP_3) | instid1(VALU_DEP_3)
	v_add_co_u32 v16, vcc_lo, v18, v16
	s_wait_alu 0xfffd
	v_add_co_ci_u32_e64 v17, null, v19, v17, vcc_lo
	v_cmp_gt_i32_e64 s2, s23, v2
	v_sub_co_u32 v10, vcc_lo, v16, v10
	s_wait_alu 0xfffd
	s_delay_alu instid0(VALU_DEP_3)
	v_sub_co_ci_u32_e64 v11, null, v17, v11, vcc_lo
	s_wait_alu 0xfffe
	v_cndmask_b32_e64 v26, 0, 1, s22
	v_add_co_u32 v22, vcc_lo, s4, v10
	s_wait_alu 0xfffd
	v_add_co_ci_u32_e64 v23, null, s5, v11, vcc_lo
	v_add_co_u32 v24, vcc_lo, s6, v12
	v_lshlrev_b64_e32 v[10:11], 3, v[14:15]
	s_wait_alu 0xfffd
	v_add_co_ci_u32_e64 v25, null, s7, v13, vcc_lo
	s_lshl_b64 s[12:13], s[16:17], 3
	s_lshl_b64 s[4:5], s[14:15], 3
	;; [unrolled: 1-line block ×3, first 2 shown]
	s_add_nc_u64 s[18:19], s[10:11], 4
	s_branch .LBB7_5
.LBB7_2:                                ;   in Loop: Header=BB7_5 Depth=1
	s_wait_alu 0xfffe
	s_or_b32 exec_lo, exec_lo, s30
	s_wait_loadcnt 0x0
	v_dual_mov_b32 v15, v13 :: v_dual_mov_b32 v14, v12
.LBB7_3:                                ;   in Loop: Header=BB7_5 Depth=1
	s_mul_u64 s[26:27], s[24:25], s[20:21]
	s_wait_alu 0xfffe
	s_lshl_b64 s[26:27], s[26:27], 3
	s_wait_loadcnt 0x0
	s_wait_alu 0xfffe
	v_add_co_u32 v12, vcc_lo, v20, s26
	s_wait_alu 0xfffd
	v_add_co_ci_u32_e64 v13, null, s27, v21, vcc_lo
	global_store_b64 v[12:13], v[14:15], off
.LBB7_4:                                ;   in Loop: Header=BB7_5 Depth=1
	s_or_b32 exec_lo, exec_lo, s35
	s_add_co_i32 s20, s20, 0x10000
	s_delay_alu instid0(SALU_CYCLE_1)
	s_cmp_lt_u32 s20, s33
	s_cbranch_scc0 .LBB7_21
.LBB7_5:                                ; =>This Loop Header: Depth=1
                                        ;     Child Loop BB7_11 Depth 2
                                        ;     Child Loop BB7_19 Depth 2
	s_and_saveexec_b32 s35, s0
	s_cbranch_execz .LBB7_4
; %bb.6:                                ;   in Loop: Header=BB7_5 Depth=1
	s_mul_u64 s[26:27], s[16:17], s[20:21]
	v_cmp_ne_u32_e64 s3, 1, v26
	s_wait_alu 0xfffe
	s_lshl_b64 s[26:27], s[26:27], 3
	s_mul_u64 s[28:29], s[14:15], s[20:21]
	s_wait_alu 0xfffe
	s_add_nc_u64 s[26:27], s[10:11], s[26:27]
	s_mov_b32 s36, -1
	s_wait_alu 0xfffe
	v_add_co_u32 v12, vcc_lo, s26, v6
	s_wait_alu 0xfffd
	v_add_co_ci_u32_e64 v13, null, s27, v7, vcc_lo
	s_mul_u64 s[26:27], s[8:9], s[20:21]
	s_and_b32 vcc_lo, exec_lo, s34
	s_wait_alu 0xfffe
	s_lshl_b64 s[30:31], s[26:27], 3
	global_load_b64 v[12:13], v[12:13], off
	s_mul_u64 s[26:27], s[12:13], s[20:21]
	s_wait_alu 0xfffe
	s_add_nc_u64 s[30:31], s[6:7], s[30:31]
                                        ; implicit-def: $vgpr15
	s_cbranch_vccz .LBB7_14
; %bb.7:                                ;   in Loop: Header=BB7_5 Depth=1
	s_wait_loadcnt 0x0
	v_dual_mov_b32 v14, v12 :: v_dual_mov_b32 v15, v13
	s_and_b32 vcc_lo, exec_lo, s3
	s_wait_alu 0xfffe
	s_cbranch_vccnz .LBB7_9
; %bb.8:                                ;   in Loop: Header=BB7_5 Depth=1
	v_add_co_u32 v14, vcc_lo, s30, v8
	s_wait_alu 0xfffd
	v_add_co_ci_u32_e64 v15, null, s31, v9, vcc_lo
	global_load_b64 v[16:17], v[14:15], off
	s_wait_loadcnt 0x0
	v_mul_f32_e32 v14, v13, v17
	v_mul_f32_e32 v15, v12, v17
	s_delay_alu instid0(VALU_DEP_2) | instskip(NEXT) | instid1(VALU_DEP_2)
	v_fma_f32 v14, v12, v16, -v14
	v_fmac_f32_e32 v15, v13, v16
.LBB7_9:                                ;   in Loop: Header=BB7_5 Depth=1
	s_and_saveexec_b32 s36, s2
	s_cbranch_execz .LBB7_13
; %bb.10:                               ;   in Loop: Header=BB7_5 Depth=1
	v_add_co_u32 v16, vcc_lo, v1, s26
	s_wait_alu 0xfffd
	v_add_co_ci_u32_e64 v17, null, s27, v3, vcc_lo
	v_add_co_u32 v18, vcc_lo, v22, s28
	s_wait_alu 0xfffd
	v_add_co_ci_u32_e64 v19, null, s29, v23, vcc_lo
	v_mov_b32_e32 v28, v2
	s_mov_b32 s37, 0
.LBB7_11:                               ;   Parent Loop BB7_5 Depth=1
                                        ; =>  This Inner Loop Header: Depth=2
	global_load_b64 v[29:30], v[18:19], off
	global_load_b64 v[31:32], v[16:17], off offset:-4
	v_add_nc_u32_e32 v28, 1, v28
	v_add_co_u32 v16, vcc_lo, v16, s4
	s_wait_alu 0xfffd
	v_add_co_ci_u32_e64 v17, null, s5, v17, vcc_lo
	v_add_co_u32 v18, vcc_lo, v18, 8
	s_wait_alu 0xfffd
	v_add_co_ci_u32_e64 v19, null, 0, v19, vcc_lo
	s_wait_loadcnt 0x0
	v_mul_f32_e32 v33, v32, v30
	v_mul_f32_e32 v30, v31, v30
	v_cmp_le_i32_e64 s3, s23, v28
	s_delay_alu instid0(VALU_DEP_3) | instskip(NEXT) | instid1(VALU_DEP_3)
	v_fma_f32 v31, v31, v29, -v33
	v_fmac_f32_e32 v30, v32, v29
	s_or_b32 s37, s3, s37
	s_delay_alu instid0(VALU_DEP_1)
	v_dual_add_f32 v14, v14, v31 :: v_dual_add_f32 v15, v15, v30
	s_and_not1_b32 exec_lo, exec_lo, s37
	s_cbranch_execnz .LBB7_11
; %bb.12:                               ;   in Loop: Header=BB7_5 Depth=1
	s_or_b32 exec_lo, exec_lo, s37
.LBB7_13:                               ;   in Loop: Header=BB7_5 Depth=1
	s_delay_alu instid0(SALU_CYCLE_1)
	s_or_b32 exec_lo, exec_lo, s36
	s_mov_b32 s36, 0
.LBB7_14:                               ;   in Loop: Header=BB7_5 Depth=1
	s_delay_alu instid0(SALU_CYCLE_1)
	s_and_b32 vcc_lo, exec_lo, s36
	s_wait_alu 0xfffe
	s_cbranch_vccz .LBB7_3
; %bb.15:                               ;   in Loop: Header=BB7_5 Depth=1
	s_and_not1_b32 vcc_lo, exec_lo, s22
	s_wait_alu 0xfffe
	s_cbranch_vccnz .LBB7_17
; %bb.16:                               ;   in Loop: Header=BB7_5 Depth=1
	v_add_co_u32 v14, vcc_lo, s30, v10
	s_wait_alu 0xfffd
	v_add_co_ci_u32_e64 v15, null, s31, v11, vcc_lo
	s_delay_alu instid0(VALU_DEP_2) | instskip(SKIP_1) | instid1(VALU_DEP_2)
	v_add_co_u32 v14, vcc_lo, v14, v4
	s_wait_alu 0xfffd
	v_add_co_ci_u32_e64 v15, null, v15, v5, vcc_lo
	global_load_b64 v[14:15], v[14:15], off
	s_wait_loadcnt 0x0
	v_mul_f32_e32 v16, v13, v15
	v_mul_f32_e32 v15, v12, v15
	s_delay_alu instid0(VALU_DEP_1) | instskip(NEXT) | instid1(VALU_DEP_1)
	v_fmac_f32_e32 v15, v13, v14
	v_mov_b32_e32 v13, v15
	s_delay_alu instid0(VALU_DEP_4)
	v_fma_f32 v12, v12, v14, -v16
.LBB7_17:                               ;   in Loop: Header=BB7_5 Depth=1
	s_and_saveexec_b32 s30, s1
	s_cbranch_execz .LBB7_2
; %bb.18:                               ;   in Loop: Header=BB7_5 Depth=1
	v_add_co_u32 v14, vcc_lo, v24, s28
	s_wait_alu 0xfffd
	v_add_co_ci_u32_e64 v15, null, s29, v25, vcc_lo
	v_mov_b32_e32 v16, v0
	s_add_nc_u64 s[26:27], s[18:19], s[26:27]
	s_mov_b32 s28, 0
.LBB7_19:                               ;   Parent Loop BB7_5 Depth=1
                                        ; =>  This Inner Loop Header: Depth=2
	global_load_b64 v[17:18], v[14:15], off
	global_load_b64 v[28:29], v27, s[26:27] offset:-4
	v_add_co_u32 v14, vcc_lo, v14, 8
	s_wait_alu 0xfffd
	v_add_co_ci_u32_e64 v15, null, 0, v15, vcc_lo
	s_wait_alu 0xfffe
	s_add_nc_u64 s[26:27], s[26:27], s[4:5]
	v_add_nc_u32_e32 v16, -1, v16
	s_delay_alu instid0(VALU_DEP_1) | instskip(SKIP_4) | instid1(VALU_DEP_2)
	v_cmp_eq_u32_e64 s3, 0, v16
	s_or_b32 s28, s3, s28
	s_wait_loadcnt 0x0
	v_mul_f32_e32 v19, v29, v18
	v_mul_f32_e32 v18, v28, v18
	v_fma_f32 v19, v28, v17, -v19
	s_delay_alu instid0(VALU_DEP_2) | instskip(NEXT) | instid1(VALU_DEP_1)
	v_fmac_f32_e32 v18, v29, v17
	v_dual_add_f32 v12, v12, v19 :: v_dual_add_f32 v13, v13, v18
	s_wait_alu 0xfffe
	s_and_not1_b32 exec_lo, exec_lo, s28
	s_cbranch_execnz .LBB7_19
; %bb.20:                               ;   in Loop: Header=BB7_5 Depth=1
	s_or_b32 exec_lo, exec_lo, s28
	s_branch .LBB7_2
.LBB7_21:
	s_endpgm
	.section	.rodata,"a",@progbits
	.p2align	6, 0x0
	.amdhsa_kernel _ZL20rocblas_tpmvt_kernelILi512EPK19rocblas_complex_numIfEPS1_S4_EvbbiT0_llT1_lllT2_li
		.amdhsa_group_segment_fixed_size 0
		.amdhsa_private_segment_fixed_size 0
		.amdhsa_kernarg_size 344
		.amdhsa_user_sgpr_count 2
		.amdhsa_user_sgpr_dispatch_ptr 0
		.amdhsa_user_sgpr_queue_ptr 0
		.amdhsa_user_sgpr_kernarg_segment_ptr 1
		.amdhsa_user_sgpr_dispatch_id 0
		.amdhsa_user_sgpr_private_segment_size 0
		.amdhsa_wavefront_size32 1
		.amdhsa_uses_dynamic_stack 0
		.amdhsa_enable_private_segment 0
		.amdhsa_system_sgpr_workgroup_id_x 1
		.amdhsa_system_sgpr_workgroup_id_y 0
		.amdhsa_system_sgpr_workgroup_id_z 1
		.amdhsa_system_sgpr_workgroup_info 0
		.amdhsa_system_vgpr_workitem_id 0
		.amdhsa_next_free_vgpr 34
		.amdhsa_next_free_sgpr 38
		.amdhsa_reserve_vcc 1
		.amdhsa_float_round_mode_32 0
		.amdhsa_float_round_mode_16_64 0
		.amdhsa_float_denorm_mode_32 3
		.amdhsa_float_denorm_mode_16_64 3
		.amdhsa_fp16_overflow 0
		.amdhsa_workgroup_processor_mode 1
		.amdhsa_memory_ordered 1
		.amdhsa_forward_progress 1
		.amdhsa_inst_pref_size 12
		.amdhsa_round_robin_scheduling 0
		.amdhsa_exception_fp_ieee_invalid_op 0
		.amdhsa_exception_fp_denorm_src 0
		.amdhsa_exception_fp_ieee_div_zero 0
		.amdhsa_exception_fp_ieee_overflow 0
		.amdhsa_exception_fp_ieee_underflow 0
		.amdhsa_exception_fp_ieee_inexact 0
		.amdhsa_exception_int_div_zero 0
	.end_amdhsa_kernel
	.section	.text._ZL20rocblas_tpmvt_kernelILi512EPK19rocblas_complex_numIfEPS1_S4_EvbbiT0_llT1_lllT2_li,"axG",@progbits,_ZL20rocblas_tpmvt_kernelILi512EPK19rocblas_complex_numIfEPS1_S4_EvbbiT0_llT1_lllT2_li,comdat
.Lfunc_end7:
	.size	_ZL20rocblas_tpmvt_kernelILi512EPK19rocblas_complex_numIfEPS1_S4_EvbbiT0_llT1_lllT2_li, .Lfunc_end7-_ZL20rocblas_tpmvt_kernelILi512EPK19rocblas_complex_numIfEPS1_S4_EvbbiT0_llT1_lllT2_li
                                        ; -- End function
	.set _ZL20rocblas_tpmvt_kernelILi512EPK19rocblas_complex_numIfEPS1_S4_EvbbiT0_llT1_lllT2_li.num_vgpr, 34
	.set _ZL20rocblas_tpmvt_kernelILi512EPK19rocblas_complex_numIfEPS1_S4_EvbbiT0_llT1_lllT2_li.num_agpr, 0
	.set _ZL20rocblas_tpmvt_kernelILi512EPK19rocblas_complex_numIfEPS1_S4_EvbbiT0_llT1_lllT2_li.numbered_sgpr, 38
	.set _ZL20rocblas_tpmvt_kernelILi512EPK19rocblas_complex_numIfEPS1_S4_EvbbiT0_llT1_lllT2_li.num_named_barrier, 0
	.set _ZL20rocblas_tpmvt_kernelILi512EPK19rocblas_complex_numIfEPS1_S4_EvbbiT0_llT1_lllT2_li.private_seg_size, 0
	.set _ZL20rocblas_tpmvt_kernelILi512EPK19rocblas_complex_numIfEPS1_S4_EvbbiT0_llT1_lllT2_li.uses_vcc, 1
	.set _ZL20rocblas_tpmvt_kernelILi512EPK19rocblas_complex_numIfEPS1_S4_EvbbiT0_llT1_lllT2_li.uses_flat_scratch, 0
	.set _ZL20rocblas_tpmvt_kernelILi512EPK19rocblas_complex_numIfEPS1_S4_EvbbiT0_llT1_lllT2_li.has_dyn_sized_stack, 0
	.set _ZL20rocblas_tpmvt_kernelILi512EPK19rocblas_complex_numIfEPS1_S4_EvbbiT0_llT1_lllT2_li.has_recursion, 0
	.set _ZL20rocblas_tpmvt_kernelILi512EPK19rocblas_complex_numIfEPS1_S4_EvbbiT0_llT1_lllT2_li.has_indirect_call, 0
	.section	.AMDGPU.csdata,"",@progbits
; Kernel info:
; codeLenInByte = 1432
; TotalNumSgprs: 40
; NumVgprs: 34
; ScratchSize: 0
; MemoryBound: 0
; FloatMode: 240
; IeeeMode: 1
; LDSByteSize: 0 bytes/workgroup (compile time only)
; SGPRBlocks: 0
; VGPRBlocks: 4
; NumSGPRsForWavesPerEU: 40
; NumVGPRsForWavesPerEU: 34
; Occupancy: 16
; WaveLimiterHint : 0
; COMPUTE_PGM_RSRC2:SCRATCH_EN: 0
; COMPUTE_PGM_RSRC2:USER_SGPR: 2
; COMPUTE_PGM_RSRC2:TRAP_HANDLER: 0
; COMPUTE_PGM_RSRC2:TGID_X_EN: 1
; COMPUTE_PGM_RSRC2:TGID_Y_EN: 0
; COMPUTE_PGM_RSRC2:TGID_Z_EN: 1
; COMPUTE_PGM_RSRC2:TIDIG_COMP_CNT: 0
	.section	.text._ZL20rocblas_tpmvc_kernelILi512EPK19rocblas_complex_numIfEPS1_S4_EvbbiT0_llT1_lllT2_li,"axG",@progbits,_ZL20rocblas_tpmvc_kernelILi512EPK19rocblas_complex_numIfEPS1_S4_EvbbiT0_llT1_lllT2_li,comdat
	.globl	_ZL20rocblas_tpmvc_kernelILi512EPK19rocblas_complex_numIfEPS1_S4_EvbbiT0_llT1_lllT2_li ; -- Begin function _ZL20rocblas_tpmvc_kernelILi512EPK19rocblas_complex_numIfEPS1_S4_EvbbiT0_llT1_lllT2_li
	.p2align	8
	.type	_ZL20rocblas_tpmvc_kernelILi512EPK19rocblas_complex_numIfEPS1_S4_EvbbiT0_llT1_lllT2_li,@function
_ZL20rocblas_tpmvc_kernelILi512EPK19rocblas_complex_numIfEPS1_S4_EvbbiT0_llT1_lllT2_li: ; @_ZL20rocblas_tpmvc_kernelILi512EPK19rocblas_complex_numIfEPS1_S4_EvbbiT0_llT1_lllT2_li
; %bb.0:
	s_load_b32 s33, s[0:1], 0x50
	s_lshr_b32 s20, ttmp7, 16
	s_wait_kmcnt 0x0
	s_cmp_ge_u32 s20, s33
	s_cbranch_scc1 .LBB8_21
; %bb.1:
	s_clause 0x4
	s_load_b32 s2, s[0:1], 0x0
	s_load_b64 s[22:23], s[0:1], 0x0
	s_load_b32 s3, s[0:1], 0x64
	s_load_b512 s[4:19], s[0:1], 0x8
	s_load_b64 s[24:25], s[0:1], 0x48
	v_mov_b32_e32 v26, 0
	s_mov_b32 s21, 0
	s_wait_kmcnt 0x0
	s_bitcmp1_b32 s2, 0
	s_cselect_b32 s0, -1, 0
	s_delay_alu instid0(SALU_CYCLE_1)
	s_xor_b32 s34, s0, -1
	s_bitcmp1_b32 s22, 8
	s_mov_b32 s0, s23
	s_cselect_b32 s22, -1, 0
	s_and_b32 s1, s3, 0xffff
	s_lshl_b64 s[12:13], s[12:13], 3
	v_mad_co_u64_u32 v[0:1], null, ttmp9, s1, v[0:1]
	s_ashr_i32 s1, s23, 31
	s_lshl_b64 s[2:3], s[6:7], 3
	s_wait_alu 0xfffe
	s_lshl_b64 s[0:1], s[0:1], 3
	s_add_nc_u64 s[10:11], s[10:11], s[12:13]
	s_wait_alu 0xfffe
	s_add_nc_u64 s[12:13], s[0:1], -8
	s_add_nc_u64 s[6:7], s[4:5], s[2:3]
	v_ashrrev_i32_e32 v1, 31, v0
	v_add_co_u32 v3, vcc_lo, v0, -1
	v_add_nc_u32_e32 v2, 1, v0
	v_mul_lo_u32 v4, s15, v0
	s_delay_alu instid0(VALU_DEP_4) | instskip(NEXT) | instid1(VALU_DEP_4)
	v_add_co_ci_u32_e64 v15, null, -1, v1, vcc_lo
	v_mul_lo_u32 v21, v3, v1
	v_mad_co_u64_u32 v[11:12], null, v3, v0, 0
	s_delay_alu instid0(VALU_DEP_3)
	v_mul_lo_u32 v22, v15, v0
	v_mad_co_u64_u32 v[5:6], null, s14, v0, 0
	v_mul_lo_u32 v20, s14, v1
	v_mad_co_u64_u32 v[13:14], null, v2, v0, 0
	;; [unrolled: 2-line block ×3, first 2 shown]
	v_mul_lo_u32 v23, s12, v1
	v_ashrrev_i32_e32 v3, 31, v2
	v_add3_u32 v12, v12, v21, v22
	v_mad_co_i64_i32 v[7:8], null, v0, s23, 0
	v_add3_u32 v6, v6, v20, v4
	s_delay_alu instid0(VALU_DEP_4) | instskip(SKIP_4) | instid1(VALU_DEP_4)
	v_lshlrev_b64_e32 v[17:18], 3, v[2:3]
	v_mov_b32_e32 v4, v14
	v_add3_u32 v14, v19, v10, v23
	v_lshrrev_b64 v[10:11], 1, v[11:12]
	v_mad_co_i64_i32 v[15:16], null, v2, v0, 0
	v_mad_co_u64_u32 v[19:20], null, v2, v1, v[4:5]
	v_add_co_u32 v4, vcc_lo, v9, v17
	s_wait_alu 0xfffd
	v_add_co_ci_u32_e64 v17, null, v14, v18, vcc_lo
	v_sub_co_u32 v7, vcc_lo, v7, v10
	s_wait_alu 0xfffd
	v_sub_co_ci_u32_e64 v8, null, v8, v11, vcc_lo
	v_lshlrev_b64_e32 v[9:10], 3, v[10:11]
	v_mul_lo_u32 v18, s14, v3
	v_mul_lo_u32 v20, s15, v2
	v_mad_co_u64_u32 v[11:12], null, s14, v2, 0
	v_mov_b32_e32 v14, v19
	v_sub_co_u32 v9, vcc_lo, v4, v9
	v_lshlrev_b64_e32 v[3:4], 3, v[0:1]
	s_wait_alu 0xfffd
	v_sub_co_ci_u32_e64 v17, null, v17, v10, vcc_lo
	v_add3_u32 v12, v12, v18, v20
	v_or_b32_e32 v21, 4, v9
	v_lshrrev_b64 v[15:16], 1, v[15:16]
	v_add_co_u32 v1, vcc_lo, s18, v3
	s_delay_alu instid0(VALU_DEP_4)
	v_lshlrev_b64_e32 v[9:10], 3, v[11:12]
	v_lshlrev_b64_e32 v[11:12], 2, v[13:14]
	s_wait_alu 0xfffd
	v_add_co_ci_u32_e64 v19, null, s19, v4, vcc_lo
	v_add_co_u32 v20, vcc_lo, s4, v21
	s_wait_alu 0xfffd
	v_add_co_ci_u32_e64 v21, null, s5, v17, vcc_lo
	v_and_b32_e32 v11, -8, v11
	v_add_co_u32 v9, vcc_lo, s10, v9
	s_wait_alu 0xfffd
	v_add_co_ci_u32_e64 v10, null, s11, v10, vcc_lo
	s_delay_alu instid0(VALU_DEP_3)
	v_add_co_u32 v11, vcc_lo, s6, v11
	s_wait_alu 0xfffd
	v_add_co_ci_u32_e64 v12, null, s7, v12, vcc_lo
	v_add_co_u32 v22, vcc_lo, v9, 4
	s_wait_alu 0xfffd
	v_add_co_ci_u32_e64 v23, null, 0, v10, vcc_lo
	v_add_co_u32 v24, vcc_lo, v11, 4
	s_xor_b32 s22, s22, -1
	v_lshlrev_b64_e32 v[5:6], 3, v[5:6]
	v_lshlrev_b64_e32 v[7:8], 3, v[7:8]
	;; [unrolled: 1-line block ×3, first 2 shown]
	v_cmp_gt_i32_e64 s0, s23, v0
	v_cmp_lt_i32_e64 s1, 0, v0
	v_cmp_gt_i32_e64 s2, s23, v2
	s_wait_alu 0xfffd
	v_add_co_ci_u32_e64 v25, null, 0, v12, vcc_lo
	s_wait_alu 0xfffe
	v_cndmask_b32_e64 v27, 0, 1, s22
	s_lshl_b64 s[4:5], s[8:9], 3
	s_lshl_b64 s[12:13], s[16:17], 3
	;; [unrolled: 1-line block ×3, first 2 shown]
	s_add_nc_u64 s[18:19], s[10:11], 4
	s_branch .LBB8_5
.LBB8_2:                                ;   in Loop: Header=BB8_5 Depth=1
	s_wait_alu 0xfffe
	s_or_b32 exec_lo, exec_lo, s30
	s_wait_loadcnt 0x0
	v_dual_mov_b32 v14, v12 :: v_dual_mov_b32 v13, v11
.LBB8_3:                                ;   in Loop: Header=BB8_5 Depth=1
	s_mul_u64 s[26:27], s[24:25], s[20:21]
	s_wait_alu 0xfffe
	s_lshl_b64 s[26:27], s[26:27], 3
	s_wait_loadcnt 0x0
	s_wait_alu 0xfffe
	v_add_co_u32 v11, vcc_lo, v1, s26
	s_wait_alu 0xfffd
	v_add_co_ci_u32_e64 v12, null, s27, v19, vcc_lo
	global_store_b64 v[11:12], v[13:14], off
.LBB8_4:                                ;   in Loop: Header=BB8_5 Depth=1
	s_or_b32 exec_lo, exec_lo, s35
	s_add_co_i32 s20, s20, 0x10000
	s_delay_alu instid0(SALU_CYCLE_1)
	s_cmp_lt_u32 s20, s33
	s_cbranch_scc0 .LBB8_21
.LBB8_5:                                ; =>This Loop Header: Depth=1
                                        ;     Child Loop BB8_11 Depth 2
                                        ;     Child Loop BB8_19 Depth 2
	s_and_saveexec_b32 s35, s0
	s_cbranch_execz .LBB8_4
; %bb.6:                                ;   in Loop: Header=BB8_5 Depth=1
	s_mul_u64 s[26:27], s[16:17], s[20:21]
	s_mul_u64 s[28:29], s[8:9], s[20:21]
	s_wait_alu 0xfffe
	s_lshl_b64 s[26:27], s[26:27], 3
	v_cmp_ne_u32_e64 s3, 1, v27
	s_wait_alu 0xfffe
	s_add_nc_u64 s[26:27], s[10:11], s[26:27]
	s_lshl_b64 s[30:31], s[28:29], 3
	s_wait_alu 0xfffe
	v_add_co_u32 v11, vcc_lo, s26, v5
	s_wait_alu 0xfffd
	v_add_co_ci_u32_e64 v12, null, s27, v6, vcc_lo
	s_mul_u64 s[26:27], s[12:13], s[20:21]
	s_mul_u64 s[28:29], s[4:5], s[20:21]
	s_add_nc_u64 s[30:31], s[6:7], s[30:31]
	global_load_b64 v[11:12], v[11:12], off
	s_and_b32 vcc_lo, exec_lo, s34
	s_mov_b32 s36, -1
                                        ; implicit-def: $vgpr14
	s_wait_alu 0xfffe
	s_cbranch_vccz .LBB8_14
; %bb.7:                                ;   in Loop: Header=BB8_5 Depth=1
	s_wait_loadcnt 0x0
	v_dual_mov_b32 v13, v11 :: v_dual_mov_b32 v14, v12
	s_and_b32 vcc_lo, exec_lo, s3
	s_wait_alu 0xfffe
	s_cbranch_vccnz .LBB8_9
; %bb.8:                                ;   in Loop: Header=BB8_5 Depth=1
	v_add_co_u32 v13, vcc_lo, s30, v7
	s_wait_alu 0xfffd
	v_add_co_ci_u32_e64 v14, null, s31, v8, vcc_lo
	global_load_b64 v[14:15], v[13:14], off
	s_wait_loadcnt 0x0
	v_mul_f32_e32 v13, v12, v15
	v_mul_f32_e32 v15, v11, v15
	s_delay_alu instid0(VALU_DEP_2) | instskip(NEXT) | instid1(VALU_DEP_2)
	v_fmac_f32_e32 v13, v11, v14
	v_fma_f32 v14, v12, v14, -v15
.LBB8_9:                                ;   in Loop: Header=BB8_5 Depth=1
	s_and_saveexec_b32 s36, s2
	s_cbranch_execz .LBB8_13
; %bb.10:                               ;   in Loop: Header=BB8_5 Depth=1
	v_add_co_u32 v15, vcc_lo, v20, s28
	s_wait_alu 0xfffd
	v_add_co_ci_u32_e64 v16, null, s29, v21, vcc_lo
	v_add_co_u32 v17, vcc_lo, v22, s26
	s_wait_alu 0xfffd
	v_add_co_ci_u32_e64 v18, null, s27, v23, vcc_lo
	v_mov_b32_e32 v28, v2
	s_mov_b32 s37, 0
.LBB8_11:                               ;   Parent Loop BB8_5 Depth=1
                                        ; =>  This Inner Loop Header: Depth=2
	global_load_b64 v[29:30], v[15:16], off offset:-4
	global_load_b64 v[31:32], v[17:18], off offset:-4
	v_add_co_u32 v15, vcc_lo, v15, 8
	s_wait_alu 0xfffd
	v_add_co_ci_u32_e64 v16, null, 0, v16, vcc_lo
	v_add_co_u32 v17, vcc_lo, v17, s14
	s_wait_alu 0xfffd
	v_add_co_ci_u32_e64 v18, null, s15, v18, vcc_lo
	s_wait_loadcnt 0x0
	v_mul_f32_e32 v33, v30, v32
	s_delay_alu instid0(VALU_DEP_1) | instskip(SKIP_1) | instid1(VALU_DEP_2)
	v_dual_fmac_f32 v33, v29, v31 :: v_dual_add_nc_u32 v28, 1, v28
	v_mul_f32_e32 v30, v30, v31
	v_cmp_le_i32_e64 s3, s23, v28
	s_delay_alu instid0(VALU_DEP_3) | instskip(NEXT) | instid1(VALU_DEP_3)
	v_add_f32_e32 v13, v13, v33
	v_fma_f32 v29, v29, v32, -v30
	s_or_b32 s37, s3, s37
	s_delay_alu instid0(VALU_DEP_1)
	v_add_f32_e32 v14, v14, v29
	s_and_not1_b32 exec_lo, exec_lo, s37
	s_cbranch_execnz .LBB8_11
; %bb.12:                               ;   in Loop: Header=BB8_5 Depth=1
	s_or_b32 exec_lo, exec_lo, s37
.LBB8_13:                               ;   in Loop: Header=BB8_5 Depth=1
	s_delay_alu instid0(SALU_CYCLE_1)
	s_or_b32 exec_lo, exec_lo, s36
	s_mov_b32 s36, 0
.LBB8_14:                               ;   in Loop: Header=BB8_5 Depth=1
	s_delay_alu instid0(SALU_CYCLE_1)
	s_and_b32 vcc_lo, exec_lo, s36
	s_wait_alu 0xfffe
	s_cbranch_vccz .LBB8_3
; %bb.15:                               ;   in Loop: Header=BB8_5 Depth=1
	s_and_not1_b32 vcc_lo, exec_lo, s22
	s_wait_alu 0xfffe
	s_cbranch_vccnz .LBB8_17
; %bb.16:                               ;   in Loop: Header=BB8_5 Depth=1
	v_add_co_u32 v13, vcc_lo, s30, v9
	s_wait_alu 0xfffd
	v_add_co_ci_u32_e64 v14, null, s31, v10, vcc_lo
	s_delay_alu instid0(VALU_DEP_2) | instskip(SKIP_1) | instid1(VALU_DEP_2)
	v_add_co_u32 v13, vcc_lo, v13, v3
	s_wait_alu 0xfffd
	v_add_co_ci_u32_e64 v14, null, v14, v4, vcc_lo
	global_load_b64 v[13:14], v[13:14], off
	s_wait_loadcnt 0x0
	v_mul_f32_e32 v15, v12, v14
	v_mul_f32_e32 v14, v11, v14
	s_delay_alu instid0(VALU_DEP_2) | instskip(NEXT) | instid1(VALU_DEP_2)
	v_fmac_f32_e32 v15, v11, v13
	v_fma_f32 v12, v12, v13, -v14
	s_delay_alu instid0(VALU_DEP_2)
	v_mov_b32_e32 v11, v15
.LBB8_17:                               ;   in Loop: Header=BB8_5 Depth=1
	s_and_saveexec_b32 s30, s1
	s_cbranch_execz .LBB8_2
; %bb.18:                               ;   in Loop: Header=BB8_5 Depth=1
	v_add_co_u32 v13, vcc_lo, v24, s28
	s_wait_alu 0xfffd
	v_add_co_ci_u32_e64 v14, null, s29, v25, vcc_lo
	v_mov_b32_e32 v15, v0
	s_add_nc_u64 s[26:27], s[18:19], s[26:27]
	s_mov_b32 s28, 0
.LBB8_19:                               ;   Parent Loop BB8_5 Depth=1
                                        ; =>  This Inner Loop Header: Depth=2
	global_load_b64 v[16:17], v[13:14], off offset:-4
	global_load_b64 v[28:29], v26, s[26:27] offset:-4
	v_add_co_u32 v13, vcc_lo, v13, 8
	s_wait_alu 0xfffd
	v_add_co_ci_u32_e64 v14, null, 0, v14, vcc_lo
	s_wait_alu 0xfffe
	s_add_nc_u64 s[26:27], s[26:27], s[14:15]
	v_add_nc_u32_e32 v15, -1, v15
	s_delay_alu instid0(VALU_DEP_1) | instskip(SKIP_4) | instid1(VALU_DEP_2)
	v_cmp_eq_u32_e64 s3, 0, v15
	s_or_b32 s28, s3, s28
	s_wait_loadcnt 0x0
	v_mul_f32_e32 v18, v17, v29
	v_mul_f32_e32 v17, v17, v28
	v_fmac_f32_e32 v18, v16, v28
	s_delay_alu instid0(VALU_DEP_2) | instskip(NEXT) | instid1(VALU_DEP_1)
	v_fma_f32 v16, v16, v29, -v17
	v_dual_add_f32 v11, v11, v18 :: v_dual_add_f32 v12, v12, v16
	s_wait_alu 0xfffe
	s_and_not1_b32 exec_lo, exec_lo, s28
	s_cbranch_execnz .LBB8_19
; %bb.20:                               ;   in Loop: Header=BB8_5 Depth=1
	s_or_b32 exec_lo, exec_lo, s28
	s_branch .LBB8_2
.LBB8_21:
	s_endpgm
	.section	.rodata,"a",@progbits
	.p2align	6, 0x0
	.amdhsa_kernel _ZL20rocblas_tpmvc_kernelILi512EPK19rocblas_complex_numIfEPS1_S4_EvbbiT0_llT1_lllT2_li
		.amdhsa_group_segment_fixed_size 0
		.amdhsa_private_segment_fixed_size 0
		.amdhsa_kernarg_size 344
		.amdhsa_user_sgpr_count 2
		.amdhsa_user_sgpr_dispatch_ptr 0
		.amdhsa_user_sgpr_queue_ptr 0
		.amdhsa_user_sgpr_kernarg_segment_ptr 1
		.amdhsa_user_sgpr_dispatch_id 0
		.amdhsa_user_sgpr_private_segment_size 0
		.amdhsa_wavefront_size32 1
		.amdhsa_uses_dynamic_stack 0
		.amdhsa_enable_private_segment 0
		.amdhsa_system_sgpr_workgroup_id_x 1
		.amdhsa_system_sgpr_workgroup_id_y 0
		.amdhsa_system_sgpr_workgroup_id_z 1
		.amdhsa_system_sgpr_workgroup_info 0
		.amdhsa_system_vgpr_workitem_id 0
		.amdhsa_next_free_vgpr 34
		.amdhsa_next_free_sgpr 38
		.amdhsa_reserve_vcc 1
		.amdhsa_float_round_mode_32 0
		.amdhsa_float_round_mode_16_64 0
		.amdhsa_float_denorm_mode_32 3
		.amdhsa_float_denorm_mode_16_64 3
		.amdhsa_fp16_overflow 0
		.amdhsa_workgroup_processor_mode 1
		.amdhsa_memory_ordered 1
		.amdhsa_forward_progress 1
		.amdhsa_inst_pref_size 12
		.amdhsa_round_robin_scheduling 0
		.amdhsa_exception_fp_ieee_invalid_op 0
		.amdhsa_exception_fp_denorm_src 0
		.amdhsa_exception_fp_ieee_div_zero 0
		.amdhsa_exception_fp_ieee_overflow 0
		.amdhsa_exception_fp_ieee_underflow 0
		.amdhsa_exception_fp_ieee_inexact 0
		.amdhsa_exception_int_div_zero 0
	.end_amdhsa_kernel
	.section	.text._ZL20rocblas_tpmvc_kernelILi512EPK19rocblas_complex_numIfEPS1_S4_EvbbiT0_llT1_lllT2_li,"axG",@progbits,_ZL20rocblas_tpmvc_kernelILi512EPK19rocblas_complex_numIfEPS1_S4_EvbbiT0_llT1_lllT2_li,comdat
.Lfunc_end8:
	.size	_ZL20rocblas_tpmvc_kernelILi512EPK19rocblas_complex_numIfEPS1_S4_EvbbiT0_llT1_lllT2_li, .Lfunc_end8-_ZL20rocblas_tpmvc_kernelILi512EPK19rocblas_complex_numIfEPS1_S4_EvbbiT0_llT1_lllT2_li
                                        ; -- End function
	.set _ZL20rocblas_tpmvc_kernelILi512EPK19rocblas_complex_numIfEPS1_S4_EvbbiT0_llT1_lllT2_li.num_vgpr, 34
	.set _ZL20rocblas_tpmvc_kernelILi512EPK19rocblas_complex_numIfEPS1_S4_EvbbiT0_llT1_lllT2_li.num_agpr, 0
	.set _ZL20rocblas_tpmvc_kernelILi512EPK19rocblas_complex_numIfEPS1_S4_EvbbiT0_llT1_lllT2_li.numbered_sgpr, 38
	.set _ZL20rocblas_tpmvc_kernelILi512EPK19rocblas_complex_numIfEPS1_S4_EvbbiT0_llT1_lllT2_li.num_named_barrier, 0
	.set _ZL20rocblas_tpmvc_kernelILi512EPK19rocblas_complex_numIfEPS1_S4_EvbbiT0_llT1_lllT2_li.private_seg_size, 0
	.set _ZL20rocblas_tpmvc_kernelILi512EPK19rocblas_complex_numIfEPS1_S4_EvbbiT0_llT1_lllT2_li.uses_vcc, 1
	.set _ZL20rocblas_tpmvc_kernelILi512EPK19rocblas_complex_numIfEPS1_S4_EvbbiT0_llT1_lllT2_li.uses_flat_scratch, 0
	.set _ZL20rocblas_tpmvc_kernelILi512EPK19rocblas_complex_numIfEPS1_S4_EvbbiT0_llT1_lllT2_li.has_dyn_sized_stack, 0
	.set _ZL20rocblas_tpmvc_kernelILi512EPK19rocblas_complex_numIfEPS1_S4_EvbbiT0_llT1_lllT2_li.has_recursion, 0
	.set _ZL20rocblas_tpmvc_kernelILi512EPK19rocblas_complex_numIfEPS1_S4_EvbbiT0_llT1_lllT2_li.has_indirect_call, 0
	.section	.AMDGPU.csdata,"",@progbits
; Kernel info:
; codeLenInByte = 1456
; TotalNumSgprs: 40
; NumVgprs: 34
; ScratchSize: 0
; MemoryBound: 0
; FloatMode: 240
; IeeeMode: 1
; LDSByteSize: 0 bytes/workgroup (compile time only)
; SGPRBlocks: 0
; VGPRBlocks: 4
; NumSGPRsForWavesPerEU: 40
; NumVGPRsForWavesPerEU: 34
; Occupancy: 16
; WaveLimiterHint : 0
; COMPUTE_PGM_RSRC2:SCRATCH_EN: 0
; COMPUTE_PGM_RSRC2:USER_SGPR: 2
; COMPUTE_PGM_RSRC2:TRAP_HANDLER: 0
; COMPUTE_PGM_RSRC2:TGID_X_EN: 1
; COMPUTE_PGM_RSRC2:TGID_Y_EN: 0
; COMPUTE_PGM_RSRC2:TGID_Z_EN: 1
; COMPUTE_PGM_RSRC2:TIDIG_COMP_CNT: 0
	.section	.text._ZL20rocblas_tpmvn_kernelILi512EPK19rocblas_complex_numIdEPS1_S4_EvbbiT0_llT1_lllT2_li,"axG",@progbits,_ZL20rocblas_tpmvn_kernelILi512EPK19rocblas_complex_numIdEPS1_S4_EvbbiT0_llT1_lllT2_li,comdat
	.globl	_ZL20rocblas_tpmvn_kernelILi512EPK19rocblas_complex_numIdEPS1_S4_EvbbiT0_llT1_lllT2_li ; -- Begin function _ZL20rocblas_tpmvn_kernelILi512EPK19rocblas_complex_numIdEPS1_S4_EvbbiT0_llT1_lllT2_li
	.p2align	8
	.type	_ZL20rocblas_tpmvn_kernelILi512EPK19rocblas_complex_numIdEPS1_S4_EvbbiT0_llT1_lllT2_li,@function
_ZL20rocblas_tpmvn_kernelILi512EPK19rocblas_complex_numIdEPS1_S4_EvbbiT0_llT1_lllT2_li: ; @_ZL20rocblas_tpmvn_kernelILi512EPK19rocblas_complex_numIdEPS1_S4_EvbbiT0_llT1_lllT2_li
; %bb.0:
	s_load_b32 s33, s[0:1], 0x50
	s_lshr_b32 s20, ttmp7, 16
	s_wait_kmcnt 0x0
	s_cmp_ge_u32 s20, s33
	s_cbranch_scc1 .LBB9_21
; %bb.1:
	s_clause 0x4
	s_load_b32 s2, s[0:1], 0x0
	s_load_b64 s[22:23], s[0:1], 0x0
	s_load_b32 s3, s[0:1], 0x64
	s_load_b512 s[4:19], s[0:1], 0x8
	s_load_b64 s[24:25], s[0:1], 0x48
	v_mov_b32_e32 v28, 0
	s_mov_b32 s21, 0
	s_wait_kmcnt 0x0
	s_bitcmp1_b32 s2, 0
	s_mov_b32 s26, s23
	s_cselect_b32 s2, -1, 0
	s_delay_alu instid0(SALU_CYCLE_1)
	s_xor_b32 s40, s2, -1
	s_bitcmp1_b32 s22, 8
	s_cselect_b32 s22, -1, 0
	s_and_b32 s0, s3, 0xffff
	s_lshl_b64 s[2:3], s[12:13], 4
	v_mad_co_u64_u32 v[8:9], null, ttmp9, s0, v[0:1]
	s_lshl_b64 s[0:1], s[6:7], 4
	s_add_nc_u64 s[6:7], s[10:11], s[2:3]
	s_xor_b32 s22, s22, -1
	s_wait_alu 0xfffe
	s_add_nc_u64 s[4:5], s[4:5], s[0:1]
	v_cndmask_b32_e64 v27, 0, 1, s22
	s_ashr_i32 s27, s23, 31
	v_add_nc_u32_e32 v10, 1, v8
	v_ashrrev_i32_e32 v9, 31, v8
	v_add_co_u32 v6, vcc_lo, v8, -1
	v_mul_lo_u32 v18, s15, v8
	s_delay_alu instid0(VALU_DEP_4) | instskip(NEXT) | instid1(VALU_DEP_4)
	v_ashrrev_i32_e32 v11, 31, v10
	v_add_co_ci_u32_e64 v13, null, -1, v9, vcc_lo
	v_mul_lo_u32 v14, s15, v10
	v_mad_co_u64_u32 v[4:5], null, s14, v10, 0
	s_delay_alu instid0(VALU_DEP_4)
	v_mul_lo_u32 v15, s14, v11
	v_mad_co_u64_u32 v[0:1], null, s14, v8, 0
	v_mul_lo_u32 v19, s14, v9
	v_mul_lo_u32 v20, v6, v9
	v_mad_co_u64_u32 v[6:7], null, v6, v8, 0
	v_mul_lo_u32 v21, v13, v8
	v_mad_co_i64_i32 v[16:17], null, v10, v8, 0
	v_add3_u32 v5, v5, v15, v14
	v_add3_u32 v1, v1, v19, v18
	v_lshlrev_b64_e32 v[14:15], 4, v[8:9]
	v_mad_co_i64_i32 v[2:3], null, v8, s23, 0
	v_add3_u32 v7, v7, v20, v21
	v_lshlrev_b64_e32 v[4:5], 4, v[4:5]
	v_lshrrev_b64 v[20:21], 1, v[16:17]
	v_lshlrev_b64_e32 v[16:17], 4, v[0:1]
	v_add_co_u32 v9, vcc_lo, s18, v14
	v_lshrrev_b64 v[0:1], 1, v[6:7]
	s_wait_alu 0xfffd
	v_add_co_ci_u32_e64 v24, null, s19, v15, vcc_lo
	v_add_co_u32 v4, vcc_lo, s6, v4
	s_wait_alu 0xfffd
	v_add_co_ci_u32_e64 v5, null, s7, v5, vcc_lo
	v_sub_co_u32 v0, vcc_lo, v2, v0
	s_wait_alu 0xfffd
	v_sub_co_ci_u32_e64 v1, null, v3, v1, vcc_lo
	v_add_nc_u32_e32 v12, 2, v8
	v_add_co_u32 v25, vcc_lo, v4, 8
	s_delay_alu instid0(VALU_DEP_3)
	v_lshlrev_b64_e32 v[18:19], 4, v[0:1]
	v_lshlrev_b64_e32 v[20:21], 4, v[20:21]
	v_cmp_gt_i32_e64 s0, s23, v8
	v_cmp_lt_i32_e64 s1, 0, v8
	v_cmp_gt_i32_e64 s2, s23, v10
	v_ashrrev_i32_e32 v13, 31, v12
	s_wait_alu 0xfffd
	v_add_co_ci_u32_e64 v26, null, 0, v5, vcc_lo
	s_add_nc_u64 s[10:11], s[6:7], 8
	s_lshl_b64 s[12:13], s[16:17], 4
	s_lshl_b64 s[14:15], s[14:15], 4
	s_branch .LBB9_5
.LBB9_2:                                ;   in Loop: Header=BB9_5 Depth=1
	s_or_b32 exec_lo, exec_lo, s30
	s_wait_loadcnt 0x0
	s_delay_alu instid0(VALU_DEP_1) | instskip(NEXT) | instid1(VALU_DEP_3)
	v_dual_mov_b32 v7, v3 :: v_dual_mov_b32 v6, v2
	v_dual_mov_b32 v5, v1 :: v_dual_mov_b32 v4, v0
.LBB9_3:                                ;   in Loop: Header=BB9_5 Depth=1
	s_mul_u64 s[18:19], s[24:25], s[20:21]
	s_wait_alu 0xfffe
	s_lshl_b64 s[18:19], s[18:19], 4
	s_wait_loadcnt 0x0
	s_wait_alu 0xfffe
	v_add_co_u32 v0, vcc_lo, v9, s18
	s_wait_alu 0xfffd
	v_add_co_ci_u32_e64 v1, null, s19, v24, vcc_lo
	global_store_b128 v[0:1], v[4:7], off
.LBB9_4:                                ;   in Loop: Header=BB9_5 Depth=1
	s_or_b32 exec_lo, exec_lo, s41
	s_add_co_i32 s20, s20, 0x10000
	s_delay_alu instid0(SALU_CYCLE_1)
	s_cmp_lt_u32 s20, s33
	s_cbranch_scc0 .LBB9_21
.LBB9_5:                                ; =>This Loop Header: Depth=1
                                        ;     Child Loop BB9_11 Depth 2
                                        ;     Child Loop BB9_19 Depth 2
	s_and_saveexec_b32 s41, s0
	s_cbranch_execz .LBB9_4
; %bb.6:                                ;   in Loop: Header=BB9_5 Depth=1
	s_mul_u64 s[18:19], s[16:17], s[20:21]
	v_cmp_ne_u32_e64 s3, 1, v27
	s_wait_alu 0xfffe
	s_lshl_b64 s[18:19], s[18:19], 4
	s_mov_b32 s30, -1
	s_wait_alu 0xfffe
	s_add_nc_u64 s[18:19], s[6:7], s[18:19]
                                        ; implicit-def: $vgpr6_vgpr7
	s_wait_alu 0xfffe
	v_add_co_u32 v0, vcc_lo, s18, v16
	s_wait_alu 0xfffd
	v_add_co_ci_u32_e64 v1, null, s19, v17, vcc_lo
	s_mul_u64 s[18:19], s[8:9], s[20:21]
	s_and_b32 vcc_lo, exec_lo, s40
	s_wait_alu 0xfffe
	s_lshl_b64 s[28:29], s[18:19], 4
	global_load_b128 v[0:3], v[0:1], off
	s_mul_u64 s[18:19], s[12:13], s[20:21]
	s_wait_alu 0xfffe
	s_add_nc_u64 s[28:29], s[4:5], s[28:29]
	s_cbranch_vccz .LBB9_14
; %bb.7:                                ;   in Loop: Header=BB9_5 Depth=1
	s_wait_loadcnt 0x0
	v_dual_mov_b32 v5, v1 :: v_dual_mov_b32 v4, v0
	v_dual_mov_b32 v7, v3 :: v_dual_mov_b32 v6, v2
	s_and_b32 vcc_lo, exec_lo, s3
	s_wait_alu 0xfffe
	s_cbranch_vccnz .LBB9_9
; %bb.8:                                ;   in Loop: Header=BB9_5 Depth=1
	v_add_co_u32 v4, vcc_lo, s28, v18
	s_wait_alu 0xfffd
	v_add_co_ci_u32_e64 v5, null, s29, v19, vcc_lo
	global_load_b128 v[29:32], v[4:5], off
	s_wait_loadcnt 0x0
	v_mul_f64_e32 v[4:5], v[2:3], v[31:32]
	v_mul_f64_e32 v[6:7], v[0:1], v[31:32]
	s_delay_alu instid0(VALU_DEP_2) | instskip(NEXT) | instid1(VALU_DEP_2)
	v_fma_f64 v[4:5], v[0:1], v[29:30], -v[4:5]
	v_fma_f64 v[6:7], v[2:3], v[29:30], v[6:7]
.LBB9_9:                                ;   in Loop: Header=BB9_5 Depth=1
	s_and_saveexec_b32 s3, s1
	s_cbranch_execz .LBB9_13
; %bb.10:                               ;   in Loop: Header=BB9_5 Depth=1
	v_mov_b32_e32 v22, v8
	s_add_nc_u64 s[30:31], s[10:11], s[18:19]
	s_mov_b64 s[34:35], 0
	s_mov_b32 s42, 0
	s_mov_b64 s[38:39], 0
	s_mov_b64 s[36:37], 0
.LBB9_11:                               ;   Parent Loop BB9_5 Depth=1
                                        ; =>  This Inner Loop Header: Depth=2
	s_wait_alu 0xfffe
	v_add_co_u32 v23, s43, s36, v22
	s_wait_alu 0xf1ff
	v_add_co_ci_u32_e64 v30, null, s37, 0, s43
	s_lshr_b64 s[44:45], s[34:35], 1
	v_add_nc_u32_e32 v22, -1, v22
	s_wait_alu 0xfffe
	v_sub_co_u32 v29, vcc_lo, v23, s44
	s_wait_alu 0xfffd
	v_subrev_co_ci_u32_e64 v30, null, s45, v30, vcc_lo
	s_add_nc_u64 s[44:45], s[38:39], 2
	s_add_nc_u64 s[36:37], s[36:37], s[26:27]
	s_add_nc_u64 s[34:35], s[34:35], s[38:39]
	v_lshlrev_b64_e32 v[29:30], 4, v[29:30]
	s_wait_alu 0xfffe
	s_mov_b64 s[38:39], s[44:45]
	s_delay_alu instid0(VALU_DEP_1) | instskip(SKIP_1) | instid1(VALU_DEP_2)
	v_add_co_u32 v33, vcc_lo, s28, v29
	s_wait_alu 0xfffd
	v_add_co_ci_u32_e64 v34, null, s29, v30, vcc_lo
	v_cmp_eq_u32_e32 vcc_lo, 0, v22
	global_load_b128 v[29:32], v28, s[30:31] offset:-8
	global_load_b128 v[33:36], v[33:34], off
	s_add_nc_u64 s[30:31], s[30:31], s[14:15]
	s_or_b32 s42, vcc_lo, s42
	s_wait_loadcnt 0x0
	v_mul_f64_e32 v[37:38], v[31:32], v[35:36]
	v_mul_f64_e32 v[35:36], v[29:30], v[35:36]
	s_delay_alu instid0(VALU_DEP_2) | instskip(NEXT) | instid1(VALU_DEP_2)
	v_fma_f64 v[29:30], v[29:30], v[33:34], -v[37:38]
	v_fma_f64 v[31:32], v[31:32], v[33:34], v[35:36]
	s_delay_alu instid0(VALU_DEP_2) | instskip(NEXT) | instid1(VALU_DEP_2)
	v_add_f64_e32 v[4:5], v[4:5], v[29:30]
	v_add_f64_e32 v[6:7], v[6:7], v[31:32]
	s_wait_alu 0xfffe
	s_and_not1_b32 exec_lo, exec_lo, s42
	s_cbranch_execnz .LBB9_11
; %bb.12:                               ;   in Loop: Header=BB9_5 Depth=1
	s_or_b32 exec_lo, exec_lo, s42
.LBB9_13:                               ;   in Loop: Header=BB9_5 Depth=1
	s_delay_alu instid0(SALU_CYCLE_1)
	s_or_b32 exec_lo, exec_lo, s3
	s_mov_b32 s30, 0
.LBB9_14:                               ;   in Loop: Header=BB9_5 Depth=1
	s_delay_alu instid0(SALU_CYCLE_1)
	s_and_b32 vcc_lo, exec_lo, s30
	s_wait_alu 0xfffe
	s_cbranch_vccz .LBB9_3
; %bb.15:                               ;   in Loop: Header=BB9_5 Depth=1
	s_and_not1_b32 vcc_lo, exec_lo, s22
	s_wait_alu 0xfffe
	s_cbranch_vccnz .LBB9_17
; %bb.16:                               ;   in Loop: Header=BB9_5 Depth=1
	v_add_co_u32 v4, vcc_lo, s28, v20
	s_wait_alu 0xfffd
	v_add_co_ci_u32_e64 v5, null, s29, v21, vcc_lo
	s_delay_alu instid0(VALU_DEP_2) | instskip(SKIP_1) | instid1(VALU_DEP_2)
	v_add_co_u32 v4, vcc_lo, v4, v14
	s_wait_alu 0xfffd
	v_add_co_ci_u32_e64 v5, null, v5, v15, vcc_lo
	global_load_b128 v[4:7], v[4:5], off
	s_wait_loadcnt 0x0
	v_mul_f64_e32 v[22:23], v[2:3], v[6:7]
	v_mul_f64_e32 v[6:7], v[0:1], v[6:7]
	s_delay_alu instid0(VALU_DEP_2) | instskip(NEXT) | instid1(VALU_DEP_2)
	v_fma_f64 v[0:1], v[0:1], v[4:5], -v[22:23]
	v_fma_f64 v[2:3], v[2:3], v[4:5], v[6:7]
.LBB9_17:                               ;   in Loop: Header=BB9_5 Depth=1
	s_and_saveexec_b32 s30, s2
	s_cbranch_execz .LBB9_2
; %bb.18:                               ;   in Loop: Header=BB9_5 Depth=1
	v_add_co_u32 v29, vcc_lo, s28, v14
	s_wait_alu 0xfffd
	v_add_co_ci_u32_e64 v30, null, s29, v15, vcc_lo
	v_add_co_u32 v4, vcc_lo, v25, s18
	s_wait_alu 0xfffd
	v_add_co_ci_u32_e64 v5, null, s19, v26, vcc_lo
	v_dual_mov_b32 v23, v11 :: v_dual_mov_b32 v22, v10
	v_dual_mov_b32 v6, v12 :: v_dual_mov_b32 v7, v13
	s_mov_b32 s18, 0
.LBB9_19:                               ;   Parent Loop BB9_5 Depth=1
                                        ; =>  This Inner Loop Header: Depth=2
	s_delay_alu instid0(VALU_DEP_1) | instskip(NEXT) | instid1(VALU_DEP_2)
	v_mul_lo_u32 v33, v7, v22
	v_mul_lo_u32 v34, v6, v23
	v_mad_co_u64_u32 v[31:32], null, v6, v22, 0
	s_delay_alu instid0(VALU_DEP_1) | instskip(NEXT) | instid1(VALU_DEP_1)
	v_add3_u32 v32, v32, v34, v33
	v_lshlrev_b64_e32 v[31:32], 3, v[31:32]
	s_delay_alu instid0(VALU_DEP_1) | instskip(NEXT) | instid1(VALU_DEP_1)
	v_and_b32_e32 v31, -16, v31
	v_add_co_u32 v35, vcc_lo, v29, v31
	s_wait_alu 0xfffd
	s_delay_alu instid0(VALU_DEP_3)
	v_add_co_ci_u32_e64 v36, null, v30, v32, vcc_lo
	global_load_b128 v[31:34], v[4:5], off offset:-8
	global_load_b128 v[35:38], v[35:36], off
	v_add_co_u32 v22, vcc_lo, v22, 1
	s_wait_alu 0xfffd
	v_add_co_ci_u32_e64 v23, null, 0, v23, vcc_lo
	v_add_co_u32 v6, vcc_lo, v6, 1
	s_wait_alu 0xfffd
	v_add_co_ci_u32_e64 v7, null, 0, v7, vcc_lo
	v_add_co_u32 v4, vcc_lo, v4, s14
	v_cmp_le_i32_e64 s3, s23, v22
	s_wait_alu 0xfffd
	v_add_co_ci_u32_e64 v5, null, s15, v5, vcc_lo
	s_wait_alu 0xfffe
	s_delay_alu instid0(VALU_DEP_2) | instskip(SKIP_3) | instid1(VALU_DEP_2)
	s_or_b32 s18, s3, s18
	s_wait_loadcnt 0x0
	v_mul_f64_e32 v[39:40], v[33:34], v[37:38]
	v_mul_f64_e32 v[37:38], v[31:32], v[37:38]
	v_fma_f64 v[31:32], v[31:32], v[35:36], -v[39:40]
	s_delay_alu instid0(VALU_DEP_2) | instskip(NEXT) | instid1(VALU_DEP_2)
	v_fma_f64 v[33:34], v[33:34], v[35:36], v[37:38]
	v_add_f64_e32 v[0:1], v[0:1], v[31:32]
	s_delay_alu instid0(VALU_DEP_2)
	v_add_f64_e32 v[2:3], v[2:3], v[33:34]
	s_wait_alu 0xfffe
	s_and_not1_b32 exec_lo, exec_lo, s18
	s_cbranch_execnz .LBB9_19
; %bb.20:                               ;   in Loop: Header=BB9_5 Depth=1
	s_or_b32 exec_lo, exec_lo, s18
	s_branch .LBB9_2
.LBB9_21:
	s_endpgm
	.section	.rodata,"a",@progbits
	.p2align	6, 0x0
	.amdhsa_kernel _ZL20rocblas_tpmvn_kernelILi512EPK19rocblas_complex_numIdEPS1_S4_EvbbiT0_llT1_lllT2_li
		.amdhsa_group_segment_fixed_size 0
		.amdhsa_private_segment_fixed_size 0
		.amdhsa_kernarg_size 344
		.amdhsa_user_sgpr_count 2
		.amdhsa_user_sgpr_dispatch_ptr 0
		.amdhsa_user_sgpr_queue_ptr 0
		.amdhsa_user_sgpr_kernarg_segment_ptr 1
		.amdhsa_user_sgpr_dispatch_id 0
		.amdhsa_user_sgpr_private_segment_size 0
		.amdhsa_wavefront_size32 1
		.amdhsa_uses_dynamic_stack 0
		.amdhsa_enable_private_segment 0
		.amdhsa_system_sgpr_workgroup_id_x 1
		.amdhsa_system_sgpr_workgroup_id_y 0
		.amdhsa_system_sgpr_workgroup_id_z 1
		.amdhsa_system_sgpr_workgroup_info 0
		.amdhsa_system_vgpr_workitem_id 0
		.amdhsa_next_free_vgpr 41
		.amdhsa_next_free_sgpr 46
		.amdhsa_reserve_vcc 1
		.amdhsa_float_round_mode_32 0
		.amdhsa_float_round_mode_16_64 0
		.amdhsa_float_denorm_mode_32 3
		.amdhsa_float_denorm_mode_16_64 3
		.amdhsa_fp16_overflow 0
		.amdhsa_workgroup_processor_mode 1
		.amdhsa_memory_ordered 1
		.amdhsa_forward_progress 1
		.amdhsa_inst_pref_size 12
		.amdhsa_round_robin_scheduling 0
		.amdhsa_exception_fp_ieee_invalid_op 0
		.amdhsa_exception_fp_denorm_src 0
		.amdhsa_exception_fp_ieee_div_zero 0
		.amdhsa_exception_fp_ieee_overflow 0
		.amdhsa_exception_fp_ieee_underflow 0
		.amdhsa_exception_fp_ieee_inexact 0
		.amdhsa_exception_int_div_zero 0
	.end_amdhsa_kernel
	.section	.text._ZL20rocblas_tpmvn_kernelILi512EPK19rocblas_complex_numIdEPS1_S4_EvbbiT0_llT1_lllT2_li,"axG",@progbits,_ZL20rocblas_tpmvn_kernelILi512EPK19rocblas_complex_numIdEPS1_S4_EvbbiT0_llT1_lllT2_li,comdat
.Lfunc_end9:
	.size	_ZL20rocblas_tpmvn_kernelILi512EPK19rocblas_complex_numIdEPS1_S4_EvbbiT0_llT1_lllT2_li, .Lfunc_end9-_ZL20rocblas_tpmvn_kernelILi512EPK19rocblas_complex_numIdEPS1_S4_EvbbiT0_llT1_lllT2_li
                                        ; -- End function
	.set _ZL20rocblas_tpmvn_kernelILi512EPK19rocblas_complex_numIdEPS1_S4_EvbbiT0_llT1_lllT2_li.num_vgpr, 41
	.set _ZL20rocblas_tpmvn_kernelILi512EPK19rocblas_complex_numIdEPS1_S4_EvbbiT0_llT1_lllT2_li.num_agpr, 0
	.set _ZL20rocblas_tpmvn_kernelILi512EPK19rocblas_complex_numIdEPS1_S4_EvbbiT0_llT1_lllT2_li.numbered_sgpr, 46
	.set _ZL20rocblas_tpmvn_kernelILi512EPK19rocblas_complex_numIdEPS1_S4_EvbbiT0_llT1_lllT2_li.num_named_barrier, 0
	.set _ZL20rocblas_tpmvn_kernelILi512EPK19rocblas_complex_numIdEPS1_S4_EvbbiT0_llT1_lllT2_li.private_seg_size, 0
	.set _ZL20rocblas_tpmvn_kernelILi512EPK19rocblas_complex_numIdEPS1_S4_EvbbiT0_llT1_lllT2_li.uses_vcc, 1
	.set _ZL20rocblas_tpmvn_kernelILi512EPK19rocblas_complex_numIdEPS1_S4_EvbbiT0_llT1_lllT2_li.uses_flat_scratch, 0
	.set _ZL20rocblas_tpmvn_kernelILi512EPK19rocblas_complex_numIdEPS1_S4_EvbbiT0_llT1_lllT2_li.has_dyn_sized_stack, 0
	.set _ZL20rocblas_tpmvn_kernelILi512EPK19rocblas_complex_numIdEPS1_S4_EvbbiT0_llT1_lllT2_li.has_recursion, 0
	.set _ZL20rocblas_tpmvn_kernelILi512EPK19rocblas_complex_numIdEPS1_S4_EvbbiT0_llT1_lllT2_li.has_indirect_call, 0
	.section	.AMDGPU.csdata,"",@progbits
; Kernel info:
; codeLenInByte = 1460
; TotalNumSgprs: 48
; NumVgprs: 41
; ScratchSize: 0
; MemoryBound: 0
; FloatMode: 240
; IeeeMode: 1
; LDSByteSize: 0 bytes/workgroup (compile time only)
; SGPRBlocks: 0
; VGPRBlocks: 5
; NumSGPRsForWavesPerEU: 48
; NumVGPRsForWavesPerEU: 41
; Occupancy: 16
; WaveLimiterHint : 0
; COMPUTE_PGM_RSRC2:SCRATCH_EN: 0
; COMPUTE_PGM_RSRC2:USER_SGPR: 2
; COMPUTE_PGM_RSRC2:TRAP_HANDLER: 0
; COMPUTE_PGM_RSRC2:TGID_X_EN: 1
; COMPUTE_PGM_RSRC2:TGID_Y_EN: 0
; COMPUTE_PGM_RSRC2:TGID_Z_EN: 1
; COMPUTE_PGM_RSRC2:TIDIG_COMP_CNT: 0
	.section	.text._ZL20rocblas_tpmvt_kernelILi512EPK19rocblas_complex_numIdEPS1_S4_EvbbiT0_llT1_lllT2_li,"axG",@progbits,_ZL20rocblas_tpmvt_kernelILi512EPK19rocblas_complex_numIdEPS1_S4_EvbbiT0_llT1_lllT2_li,comdat
	.globl	_ZL20rocblas_tpmvt_kernelILi512EPK19rocblas_complex_numIdEPS1_S4_EvbbiT0_llT1_lllT2_li ; -- Begin function _ZL20rocblas_tpmvt_kernelILi512EPK19rocblas_complex_numIdEPS1_S4_EvbbiT0_llT1_lllT2_li
	.p2align	8
	.type	_ZL20rocblas_tpmvt_kernelILi512EPK19rocblas_complex_numIdEPS1_S4_EvbbiT0_llT1_lllT2_li,@function
_ZL20rocblas_tpmvt_kernelILi512EPK19rocblas_complex_numIdEPS1_S4_EvbbiT0_llT1_lllT2_li: ; @_ZL20rocblas_tpmvt_kernelILi512EPK19rocblas_complex_numIdEPS1_S4_EvbbiT0_llT1_lllT2_li
; %bb.0:
	s_load_b32 s33, s[0:1], 0x50
	s_lshr_b32 s20, ttmp7, 16
	s_wait_kmcnt 0x0
	s_cmp_ge_u32 s20, s33
	s_cbranch_scc1 .LBB10_21
; %bb.1:
	s_clause 0x4
	s_load_b32 s2, s[0:1], 0x0
	s_load_b64 s[22:23], s[0:1], 0x0
	s_load_b32 s3, s[0:1], 0x64
	s_load_b512 s[4:19], s[0:1], 0x8
	s_load_b64 s[24:25], s[0:1], 0x48
	v_mov_b32_e32 v30, 0
	s_mov_b32 s21, 0
	s_wait_kmcnt 0x0
	s_bitcmp1_b32 s2, 0
	s_cselect_b32 s0, -1, 0
	s_delay_alu instid0(SALU_CYCLE_1)
	s_xor_b32 s34, s0, -1
	s_bitcmp1_b32 s22, 8
	s_mov_b32 s0, s23
	s_cselect_b32 s22, -1, 0
	s_and_b32 s1, s3, 0xffff
	s_lshl_b64 s[12:13], s[12:13], 4
	v_mad_co_u64_u32 v[8:9], null, ttmp9, s1, v[0:1]
	s_ashr_i32 s1, s23, 31
	s_lshl_b64 s[2:3], s[6:7], 4
	s_wait_alu 0xfffe
	s_lshl_b64 s[0:1], s[0:1], 4
	s_add_nc_u64 s[10:11], s[10:11], s[12:13]
	s_wait_alu 0xfffe
	s_add_nc_u64 s[12:13], s[0:1], -16
	s_add_nc_u64 s[6:7], s[4:5], s[2:3]
	v_ashrrev_i32_e32 v9, 31, v8
	v_add_co_u32 v6, vcc_lo, v8, -1
	v_add_nc_u32_e32 v10, 1, v8
	v_mul_lo_u32 v12, s15, v8
	s_delay_alu instid0(VALU_DEP_4) | instskip(NEXT) | instid1(VALU_DEP_4)
	v_add_co_ci_u32_e64 v15, null, -1, v9, vcc_lo
	v_mul_lo_u32 v20, v6, v9
	v_mad_co_u64_u32 v[6:7], null, v6, v8, 0
	s_delay_alu instid0(VALU_DEP_3)
	v_mul_lo_u32 v22, v15, v8
	v_mad_co_u64_u32 v[0:1], null, s14, v8, 0
	v_mul_lo_u32 v19, s14, v9
	v_mad_co_u64_u32 v[13:14], null, v10, v8, 0
	;; [unrolled: 2-line block ×3, first 2 shown]
	v_mad_co_i64_i32 v[15:16], null, v10, v8, 0
	v_mul_lo_u32 v23, s12, v9
	v_ashrrev_i32_e32 v11, 31, v10
	v_add3_u32 v7, v7, v20, v22
	v_mad_co_i64_i32 v[2:3], null, v8, s23, 0
	v_add3_u32 v1, v1, v19, v12
	s_delay_alu instid0(VALU_DEP_4)
	v_lshlrev_b64_e32 v[17:18], 4, v[10:11]
	v_mov_b32_e32 v12, v14
	v_lshrrev_b64 v[19:20], 1, v[15:16]
	v_add3_u32 v16, v21, v5, v23
	v_lshrrev_b64 v[5:6], 1, v[6:7]
	s_xor_b32 s22, s22, -1
	v_mad_co_u64_u32 v[14:15], null, v10, v9, v[12:13]
	v_add_co_u32 v12, vcc_lo, v4, v17
	s_wait_alu 0xfffd
	v_add_co_ci_u32_e64 v15, null, v16, v18, vcc_lo
	v_sub_co_u32 v2, vcc_lo, v2, v5
	s_wait_alu 0xfffd
	v_sub_co_ci_u32_e64 v3, null, v3, v6, vcc_lo
	v_lshlrev_b64_e32 v[4:5], 4, v[5:6]
	v_mul_lo_u32 v16, s14, v11
	v_mul_lo_u32 v17, s15, v10
	v_mad_co_u64_u32 v[6:7], null, s14, v10, 0
	v_cmp_gt_i32_e64 s0, s23, v8
	v_sub_co_u32 v4, vcc_lo, v12, v4
	v_lshlrev_b64_e32 v[11:12], 4, v[8:9]
	s_wait_alu 0xfffd
	v_sub_co_ci_u32_e64 v15, null, v15, v5, vcc_lo
	v_add3_u32 v7, v7, v16, v17
	v_or_b32_e32 v18, 8, v4
	v_cmp_lt_i32_e64 s1, 0, v8
	v_add_co_u32 v9, vcc_lo, s18, v11
	s_delay_alu instid0(VALU_DEP_4)
	v_lshlrev_b64_e32 v[4:5], 4, v[6:7]
	v_lshlrev_b64_e32 v[6:7], 3, v[13:14]
	s_wait_alu 0xfffd
	v_add_co_ci_u32_e64 v23, null, s19, v12, vcc_lo
	v_add_co_u32 v24, vcc_lo, s4, v18
	s_wait_alu 0xfffd
	v_add_co_ci_u32_e64 v25, null, s5, v15, vcc_lo
	v_and_b32_e32 v6, -16, v6
	v_add_co_u32 v4, vcc_lo, s10, v4
	s_wait_alu 0xfffd
	v_add_co_ci_u32_e64 v5, null, s11, v5, vcc_lo
	s_delay_alu instid0(VALU_DEP_3)
	v_add_co_u32 v6, vcc_lo, s6, v6
	s_wait_alu 0xfffd
	v_add_co_ci_u32_e64 v7, null, s7, v7, vcc_lo
	v_add_co_u32 v26, vcc_lo, v4, 8
	s_wait_alu 0xfffd
	v_add_co_ci_u32_e64 v27, null, 0, v5, vcc_lo
	v_add_co_u32 v28, vcc_lo, v6, 8
	v_lshlrev_b64_e32 v[13:14], 4, v[0:1]
	v_lshlrev_b64_e32 v[15:16], 4, v[2:3]
	;; [unrolled: 1-line block ×3, first 2 shown]
	v_cmp_gt_i32_e64 s2, s23, v10
	s_wait_alu 0xfffd
	v_add_co_ci_u32_e64 v29, null, 0, v7, vcc_lo
	s_wait_alu 0xfffe
	v_cndmask_b32_e64 v31, 0, 1, s22
	s_lshl_b64 s[4:5], s[8:9], 4
	s_lshl_b64 s[12:13], s[16:17], 4
	;; [unrolled: 1-line block ×3, first 2 shown]
	s_add_nc_u64 s[18:19], s[10:11], 8
	s_branch .LBB10_5
.LBB10_2:                               ;   in Loop: Header=BB10_5 Depth=1
	s_wait_alu 0xfffe
	s_or_b32 exec_lo, exec_lo, s30
	s_wait_loadcnt 0x0
	s_delay_alu instid0(VALU_DEP_1) | instskip(NEXT) | instid1(VALU_DEP_3)
	v_dual_mov_b32 v7, v3 :: v_dual_mov_b32 v6, v2
	v_dual_mov_b32 v5, v1 :: v_dual_mov_b32 v4, v0
.LBB10_3:                               ;   in Loop: Header=BB10_5 Depth=1
	s_mul_u64 s[26:27], s[24:25], s[20:21]
	s_wait_alu 0xfffe
	s_lshl_b64 s[26:27], s[26:27], 4
	s_wait_loadcnt 0x0
	s_wait_alu 0xfffe
	v_add_co_u32 v0, vcc_lo, v9, s26
	s_wait_alu 0xfffd
	v_add_co_ci_u32_e64 v1, null, s27, v23, vcc_lo
	global_store_b128 v[0:1], v[4:7], off
.LBB10_4:                               ;   in Loop: Header=BB10_5 Depth=1
	s_or_b32 exec_lo, exec_lo, s35
	s_add_co_i32 s20, s20, 0x10000
	s_delay_alu instid0(SALU_CYCLE_1)
	s_cmp_lt_u32 s20, s33
	s_cbranch_scc0 .LBB10_21
.LBB10_5:                               ; =>This Loop Header: Depth=1
                                        ;     Child Loop BB10_11 Depth 2
                                        ;     Child Loop BB10_19 Depth 2
	s_and_saveexec_b32 s35, s0
	s_cbranch_execz .LBB10_4
; %bb.6:                                ;   in Loop: Header=BB10_5 Depth=1
	s_mul_u64 s[26:27], s[16:17], s[20:21]
	s_mul_u64 s[28:29], s[8:9], s[20:21]
	s_wait_alu 0xfffe
	s_lshl_b64 s[26:27], s[26:27], 4
	v_cmp_ne_u32_e64 s3, 1, v31
	s_wait_alu 0xfffe
	s_add_nc_u64 s[26:27], s[10:11], s[26:27]
	s_lshl_b64 s[30:31], s[28:29], 4
	s_wait_alu 0xfffe
	v_add_co_u32 v0, vcc_lo, s26, v13
	s_wait_alu 0xfffd
	v_add_co_ci_u32_e64 v1, null, s27, v14, vcc_lo
	s_mul_u64 s[26:27], s[12:13], s[20:21]
	s_mul_u64 s[28:29], s[4:5], s[20:21]
	s_add_nc_u64 s[30:31], s[6:7], s[30:31]
	global_load_b128 v[0:3], v[0:1], off
	s_and_b32 vcc_lo, exec_lo, s34
	s_mov_b32 s36, -1
                                        ; implicit-def: $vgpr6_vgpr7
	s_wait_alu 0xfffe
	s_cbranch_vccz .LBB10_14
; %bb.7:                                ;   in Loop: Header=BB10_5 Depth=1
	s_wait_loadcnt 0x0
	v_dual_mov_b32 v5, v1 :: v_dual_mov_b32 v4, v0
	v_dual_mov_b32 v7, v3 :: v_dual_mov_b32 v6, v2
	s_and_b32 vcc_lo, exec_lo, s3
	s_wait_alu 0xfffe
	s_cbranch_vccnz .LBB10_9
; %bb.8:                                ;   in Loop: Header=BB10_5 Depth=1
	v_add_co_u32 v4, vcc_lo, s30, v15
	s_wait_alu 0xfffd
	v_add_co_ci_u32_e64 v5, null, s31, v16, vcc_lo
	global_load_b128 v[19:22], v[4:5], off
	s_wait_loadcnt 0x0
	v_mul_f64_e32 v[4:5], v[2:3], v[21:22]
	v_mul_f64_e32 v[6:7], v[0:1], v[21:22]
	s_delay_alu instid0(VALU_DEP_2) | instskip(NEXT) | instid1(VALU_DEP_2)
	v_fma_f64 v[4:5], v[0:1], v[19:20], -v[4:5]
	v_fma_f64 v[6:7], v[2:3], v[19:20], v[6:7]
.LBB10_9:                               ;   in Loop: Header=BB10_5 Depth=1
	s_and_saveexec_b32 s36, s2
	s_cbranch_execz .LBB10_13
; %bb.10:                               ;   in Loop: Header=BB10_5 Depth=1
	v_add_co_u32 v19, vcc_lo, v24, s28
	s_wait_alu 0xfffd
	v_add_co_ci_u32_e64 v20, null, s29, v25, vcc_lo
	v_add_co_u32 v21, vcc_lo, v26, s26
	s_wait_alu 0xfffd
	v_add_co_ci_u32_e64 v22, null, s27, v27, vcc_lo
	v_mov_b32_e32 v32, v10
	s_mov_b32 s37, 0
.LBB10_11:                              ;   Parent Loop BB10_5 Depth=1
                                        ; =>  This Inner Loop Header: Depth=2
	global_load_b128 v[33:36], v[21:22], off offset:-8
	global_load_b128 v[37:40], v[19:20], off offset:-8
	v_add_nc_u32_e32 v32, 1, v32
	v_add_co_u32 v19, vcc_lo, v19, 16
	s_wait_alu 0xfffd
	v_add_co_ci_u32_e64 v20, null, 0, v20, vcc_lo
	s_delay_alu instid0(VALU_DEP_3)
	v_cmp_le_i32_e32 vcc_lo, s23, v32
	v_add_co_u32 v21, s3, v21, s14
	s_wait_alu 0xf1ff
	v_add_co_ci_u32_e64 v22, null, s15, v22, s3
	s_or_b32 s37, vcc_lo, s37
	s_wait_loadcnt 0x0
	v_mul_f64_e32 v[41:42], v[35:36], v[39:40]
	v_mul_f64_e32 v[39:40], v[33:34], v[39:40]
	s_delay_alu instid0(VALU_DEP_2) | instskip(NEXT) | instid1(VALU_DEP_2)
	v_fma_f64 v[33:34], v[33:34], v[37:38], -v[41:42]
	v_fma_f64 v[35:36], v[35:36], v[37:38], v[39:40]
	s_delay_alu instid0(VALU_DEP_2) | instskip(NEXT) | instid1(VALU_DEP_2)
	v_add_f64_e32 v[4:5], v[4:5], v[33:34]
	v_add_f64_e32 v[6:7], v[6:7], v[35:36]
	s_and_not1_b32 exec_lo, exec_lo, s37
	s_cbranch_execnz .LBB10_11
; %bb.12:                               ;   in Loop: Header=BB10_5 Depth=1
	s_or_b32 exec_lo, exec_lo, s37
.LBB10_13:                              ;   in Loop: Header=BB10_5 Depth=1
	s_delay_alu instid0(SALU_CYCLE_1)
	s_or_b32 exec_lo, exec_lo, s36
	s_mov_b32 s36, 0
.LBB10_14:                              ;   in Loop: Header=BB10_5 Depth=1
	s_delay_alu instid0(SALU_CYCLE_1)
	s_and_b32 vcc_lo, exec_lo, s36
	s_wait_alu 0xfffe
	s_cbranch_vccz .LBB10_3
; %bb.15:                               ;   in Loop: Header=BB10_5 Depth=1
	s_and_not1_b32 vcc_lo, exec_lo, s22
	s_wait_alu 0xfffe
	s_cbranch_vccnz .LBB10_17
; %bb.16:                               ;   in Loop: Header=BB10_5 Depth=1
	v_add_co_u32 v4, vcc_lo, s30, v17
	s_wait_alu 0xfffd
	v_add_co_ci_u32_e64 v5, null, s31, v18, vcc_lo
	s_delay_alu instid0(VALU_DEP_2) | instskip(SKIP_1) | instid1(VALU_DEP_2)
	v_add_co_u32 v4, vcc_lo, v4, v11
	s_wait_alu 0xfffd
	v_add_co_ci_u32_e64 v5, null, v5, v12, vcc_lo
	global_load_b128 v[4:7], v[4:5], off
	s_wait_loadcnt 0x0
	v_mul_f64_e32 v[19:20], v[2:3], v[6:7]
	v_mul_f64_e32 v[6:7], v[0:1], v[6:7]
	s_delay_alu instid0(VALU_DEP_2) | instskip(NEXT) | instid1(VALU_DEP_2)
	v_fma_f64 v[0:1], v[0:1], v[4:5], -v[19:20]
	v_fma_f64 v[2:3], v[2:3], v[4:5], v[6:7]
.LBB10_17:                              ;   in Loop: Header=BB10_5 Depth=1
	s_and_saveexec_b32 s30, s1
	s_cbranch_execz .LBB10_2
; %bb.18:                               ;   in Loop: Header=BB10_5 Depth=1
	v_add_co_u32 v4, vcc_lo, v28, s28
	s_wait_alu 0xfffd
	v_add_co_ci_u32_e64 v5, null, s29, v29, vcc_lo
	v_mov_b32_e32 v6, v8
	s_add_nc_u64 s[26:27], s[18:19], s[26:27]
	s_mov_b32 s28, 0
.LBB10_19:                              ;   Parent Loop BB10_5 Depth=1
                                        ; =>  This Inner Loop Header: Depth=2
	global_load_b128 v[19:22], v30, s[26:27] offset:-8
	global_load_b128 v[32:35], v[4:5], off offset:-8
	v_add_nc_u32_e32 v6, -1, v6
	v_add_co_u32 v4, s3, v4, 16
	s_wait_alu 0xf1ff
	v_add_co_ci_u32_e64 v5, null, 0, v5, s3
	s_delay_alu instid0(VALU_DEP_3)
	v_cmp_eq_u32_e32 vcc_lo, 0, v6
	s_wait_alu 0xfffe
	s_add_nc_u64 s[26:27], s[26:27], s[14:15]
	s_or_b32 s28, vcc_lo, s28
	s_wait_loadcnt 0x0
	v_mul_f64_e32 v[36:37], v[21:22], v[34:35]
	v_mul_f64_e32 v[34:35], v[19:20], v[34:35]
	s_delay_alu instid0(VALU_DEP_2) | instskip(NEXT) | instid1(VALU_DEP_2)
	v_fma_f64 v[19:20], v[19:20], v[32:33], -v[36:37]
	v_fma_f64 v[21:22], v[21:22], v[32:33], v[34:35]
	s_delay_alu instid0(VALU_DEP_2) | instskip(NEXT) | instid1(VALU_DEP_2)
	v_add_f64_e32 v[0:1], v[0:1], v[19:20]
	v_add_f64_e32 v[2:3], v[2:3], v[21:22]
	s_wait_alu 0xfffe
	s_and_not1_b32 exec_lo, exec_lo, s28
	s_cbranch_execnz .LBB10_19
; %bb.20:                               ;   in Loop: Header=BB10_5 Depth=1
	s_or_b32 exec_lo, exec_lo, s28
	s_branch .LBB10_2
.LBB10_21:
	s_endpgm
	.section	.rodata,"a",@progbits
	.p2align	6, 0x0
	.amdhsa_kernel _ZL20rocblas_tpmvt_kernelILi512EPK19rocblas_complex_numIdEPS1_S4_EvbbiT0_llT1_lllT2_li
		.amdhsa_group_segment_fixed_size 0
		.amdhsa_private_segment_fixed_size 0
		.amdhsa_kernarg_size 344
		.amdhsa_user_sgpr_count 2
		.amdhsa_user_sgpr_dispatch_ptr 0
		.amdhsa_user_sgpr_queue_ptr 0
		.amdhsa_user_sgpr_kernarg_segment_ptr 1
		.amdhsa_user_sgpr_dispatch_id 0
		.amdhsa_user_sgpr_private_segment_size 0
		.amdhsa_wavefront_size32 1
		.amdhsa_uses_dynamic_stack 0
		.amdhsa_enable_private_segment 0
		.amdhsa_system_sgpr_workgroup_id_x 1
		.amdhsa_system_sgpr_workgroup_id_y 0
		.amdhsa_system_sgpr_workgroup_id_z 1
		.amdhsa_system_sgpr_workgroup_info 0
		.amdhsa_system_vgpr_workitem_id 0
		.amdhsa_next_free_vgpr 43
		.amdhsa_next_free_sgpr 38
		.amdhsa_reserve_vcc 1
		.amdhsa_float_round_mode_32 0
		.amdhsa_float_round_mode_16_64 0
		.amdhsa_float_denorm_mode_32 3
		.amdhsa_float_denorm_mode_16_64 3
		.amdhsa_fp16_overflow 0
		.amdhsa_workgroup_processor_mode 1
		.amdhsa_memory_ordered 1
		.amdhsa_forward_progress 1
		.amdhsa_inst_pref_size 12
		.amdhsa_round_robin_scheduling 0
		.amdhsa_exception_fp_ieee_invalid_op 0
		.amdhsa_exception_fp_denorm_src 0
		.amdhsa_exception_fp_ieee_div_zero 0
		.amdhsa_exception_fp_ieee_overflow 0
		.amdhsa_exception_fp_ieee_underflow 0
		.amdhsa_exception_fp_ieee_inexact 0
		.amdhsa_exception_int_div_zero 0
	.end_amdhsa_kernel
	.section	.text._ZL20rocblas_tpmvt_kernelILi512EPK19rocblas_complex_numIdEPS1_S4_EvbbiT0_llT1_lllT2_li,"axG",@progbits,_ZL20rocblas_tpmvt_kernelILi512EPK19rocblas_complex_numIdEPS1_S4_EvbbiT0_llT1_lllT2_li,comdat
.Lfunc_end10:
	.size	_ZL20rocblas_tpmvt_kernelILi512EPK19rocblas_complex_numIdEPS1_S4_EvbbiT0_llT1_lllT2_li, .Lfunc_end10-_ZL20rocblas_tpmvt_kernelILi512EPK19rocblas_complex_numIdEPS1_S4_EvbbiT0_llT1_lllT2_li
                                        ; -- End function
	.set _ZL20rocblas_tpmvt_kernelILi512EPK19rocblas_complex_numIdEPS1_S4_EvbbiT0_llT1_lllT2_li.num_vgpr, 43
	.set _ZL20rocblas_tpmvt_kernelILi512EPK19rocblas_complex_numIdEPS1_S4_EvbbiT0_llT1_lllT2_li.num_agpr, 0
	.set _ZL20rocblas_tpmvt_kernelILi512EPK19rocblas_complex_numIdEPS1_S4_EvbbiT0_llT1_lllT2_li.numbered_sgpr, 38
	.set _ZL20rocblas_tpmvt_kernelILi512EPK19rocblas_complex_numIdEPS1_S4_EvbbiT0_llT1_lllT2_li.num_named_barrier, 0
	.set _ZL20rocblas_tpmvt_kernelILi512EPK19rocblas_complex_numIdEPS1_S4_EvbbiT0_llT1_lllT2_li.private_seg_size, 0
	.set _ZL20rocblas_tpmvt_kernelILi512EPK19rocblas_complex_numIdEPS1_S4_EvbbiT0_llT1_lllT2_li.uses_vcc, 1
	.set _ZL20rocblas_tpmvt_kernelILi512EPK19rocblas_complex_numIdEPS1_S4_EvbbiT0_llT1_lllT2_li.uses_flat_scratch, 0
	.set _ZL20rocblas_tpmvt_kernelILi512EPK19rocblas_complex_numIdEPS1_S4_EvbbiT0_llT1_lllT2_li.has_dyn_sized_stack, 0
	.set _ZL20rocblas_tpmvt_kernelILi512EPK19rocblas_complex_numIdEPS1_S4_EvbbiT0_llT1_lllT2_li.has_recursion, 0
	.set _ZL20rocblas_tpmvt_kernelILi512EPK19rocblas_complex_numIdEPS1_S4_EvbbiT0_llT1_lllT2_li.has_indirect_call, 0
	.section	.AMDGPU.csdata,"",@progbits
; Kernel info:
; codeLenInByte = 1476
; TotalNumSgprs: 40
; NumVgprs: 43
; ScratchSize: 0
; MemoryBound: 0
; FloatMode: 240
; IeeeMode: 1
; LDSByteSize: 0 bytes/workgroup (compile time only)
; SGPRBlocks: 0
; VGPRBlocks: 5
; NumSGPRsForWavesPerEU: 40
; NumVGPRsForWavesPerEU: 43
; Occupancy: 16
; WaveLimiterHint : 0
; COMPUTE_PGM_RSRC2:SCRATCH_EN: 0
; COMPUTE_PGM_RSRC2:USER_SGPR: 2
; COMPUTE_PGM_RSRC2:TRAP_HANDLER: 0
; COMPUTE_PGM_RSRC2:TGID_X_EN: 1
; COMPUTE_PGM_RSRC2:TGID_Y_EN: 0
; COMPUTE_PGM_RSRC2:TGID_Z_EN: 1
; COMPUTE_PGM_RSRC2:TIDIG_COMP_CNT: 0
	.section	.text._ZL20rocblas_tpmvc_kernelILi512EPK19rocblas_complex_numIdEPS1_S4_EvbbiT0_llT1_lllT2_li,"axG",@progbits,_ZL20rocblas_tpmvc_kernelILi512EPK19rocblas_complex_numIdEPS1_S4_EvbbiT0_llT1_lllT2_li,comdat
	.globl	_ZL20rocblas_tpmvc_kernelILi512EPK19rocblas_complex_numIdEPS1_S4_EvbbiT0_llT1_lllT2_li ; -- Begin function _ZL20rocblas_tpmvc_kernelILi512EPK19rocblas_complex_numIdEPS1_S4_EvbbiT0_llT1_lllT2_li
	.p2align	8
	.type	_ZL20rocblas_tpmvc_kernelILi512EPK19rocblas_complex_numIdEPS1_S4_EvbbiT0_llT1_lllT2_li,@function
_ZL20rocblas_tpmvc_kernelILi512EPK19rocblas_complex_numIdEPS1_S4_EvbbiT0_llT1_lllT2_li: ; @_ZL20rocblas_tpmvc_kernelILi512EPK19rocblas_complex_numIdEPS1_S4_EvbbiT0_llT1_lllT2_li
; %bb.0:
	s_load_b32 s33, s[0:1], 0x50
	s_lshr_b32 s20, ttmp7, 16
	s_wait_kmcnt 0x0
	s_cmp_ge_u32 s20, s33
	s_cbranch_scc1 .LBB11_21
; %bb.1:
	s_clause 0x4
	s_load_b32 s2, s[0:1], 0x0
	s_load_b64 s[22:23], s[0:1], 0x0
	s_load_b32 s3, s[0:1], 0x64
	s_load_b512 s[4:19], s[0:1], 0x8
	s_load_b64 s[24:25], s[0:1], 0x48
	v_mov_b32_e32 v30, 0
	s_mov_b32 s21, 0
	s_wait_kmcnt 0x0
	s_bitcmp1_b32 s2, 0
	s_cselect_b32 s0, -1, 0
	s_delay_alu instid0(SALU_CYCLE_1)
	s_xor_b32 s34, s0, -1
	s_bitcmp1_b32 s22, 8
	s_mov_b32 s0, s23
	s_cselect_b32 s22, -1, 0
	s_and_b32 s1, s3, 0xffff
	s_lshl_b64 s[12:13], s[12:13], 4
	v_mad_co_u64_u32 v[8:9], null, ttmp9, s1, v[0:1]
	s_ashr_i32 s1, s23, 31
	s_lshl_b64 s[2:3], s[6:7], 4
	s_wait_alu 0xfffe
	s_lshl_b64 s[0:1], s[0:1], 4
	s_add_nc_u64 s[10:11], s[10:11], s[12:13]
	s_wait_alu 0xfffe
	s_add_nc_u64 s[12:13], s[0:1], -16
	s_add_nc_u64 s[6:7], s[4:5], s[2:3]
	v_ashrrev_i32_e32 v9, 31, v8
	v_add_co_u32 v6, vcc_lo, v8, -1
	v_add_nc_u32_e32 v10, 1, v8
	v_mul_lo_u32 v12, s15, v8
	s_delay_alu instid0(VALU_DEP_4) | instskip(NEXT) | instid1(VALU_DEP_4)
	v_add_co_ci_u32_e64 v15, null, -1, v9, vcc_lo
	v_mul_lo_u32 v20, v6, v9
	v_mad_co_u64_u32 v[6:7], null, v6, v8, 0
	s_delay_alu instid0(VALU_DEP_3)
	v_mul_lo_u32 v22, v15, v8
	v_mad_co_u64_u32 v[0:1], null, s14, v8, 0
	v_mul_lo_u32 v19, s14, v9
	v_mad_co_u64_u32 v[13:14], null, v10, v8, 0
	;; [unrolled: 2-line block ×3, first 2 shown]
	v_mad_co_i64_i32 v[15:16], null, v10, v8, 0
	v_mul_lo_u32 v23, s12, v9
	v_ashrrev_i32_e32 v11, 31, v10
	v_add3_u32 v7, v7, v20, v22
	v_mad_co_i64_i32 v[2:3], null, v8, s23, 0
	v_add3_u32 v1, v1, v19, v12
	s_delay_alu instid0(VALU_DEP_4)
	v_lshlrev_b64_e32 v[17:18], 4, v[10:11]
	v_mov_b32_e32 v12, v14
	v_lshrrev_b64 v[19:20], 1, v[15:16]
	v_add3_u32 v16, v21, v5, v23
	v_lshrrev_b64 v[5:6], 1, v[6:7]
	s_xor_b32 s22, s22, -1
	v_mad_co_u64_u32 v[14:15], null, v10, v9, v[12:13]
	v_add_co_u32 v12, vcc_lo, v4, v17
	s_wait_alu 0xfffd
	v_add_co_ci_u32_e64 v15, null, v16, v18, vcc_lo
	v_sub_co_u32 v2, vcc_lo, v2, v5
	s_wait_alu 0xfffd
	v_sub_co_ci_u32_e64 v3, null, v3, v6, vcc_lo
	v_lshlrev_b64_e32 v[4:5], 4, v[5:6]
	v_mul_lo_u32 v16, s14, v11
	v_mul_lo_u32 v17, s15, v10
	v_mad_co_u64_u32 v[6:7], null, s14, v10, 0
	v_cmp_gt_i32_e64 s0, s23, v8
	v_sub_co_u32 v4, vcc_lo, v12, v4
	v_lshlrev_b64_e32 v[11:12], 4, v[8:9]
	s_wait_alu 0xfffd
	v_sub_co_ci_u32_e64 v15, null, v15, v5, vcc_lo
	v_add3_u32 v7, v7, v16, v17
	v_or_b32_e32 v18, 8, v4
	v_cmp_lt_i32_e64 s1, 0, v8
	v_add_co_u32 v9, vcc_lo, s18, v11
	s_delay_alu instid0(VALU_DEP_4)
	v_lshlrev_b64_e32 v[4:5], 4, v[6:7]
	v_lshlrev_b64_e32 v[6:7], 3, v[13:14]
	s_wait_alu 0xfffd
	v_add_co_ci_u32_e64 v23, null, s19, v12, vcc_lo
	v_add_co_u32 v24, vcc_lo, s4, v18
	s_wait_alu 0xfffd
	v_add_co_ci_u32_e64 v25, null, s5, v15, vcc_lo
	v_and_b32_e32 v6, -16, v6
	v_add_co_u32 v4, vcc_lo, s10, v4
	s_wait_alu 0xfffd
	v_add_co_ci_u32_e64 v5, null, s11, v5, vcc_lo
	s_delay_alu instid0(VALU_DEP_3)
	v_add_co_u32 v6, vcc_lo, s6, v6
	s_wait_alu 0xfffd
	v_add_co_ci_u32_e64 v7, null, s7, v7, vcc_lo
	v_add_co_u32 v26, vcc_lo, v4, 8
	s_wait_alu 0xfffd
	v_add_co_ci_u32_e64 v27, null, 0, v5, vcc_lo
	v_add_co_u32 v28, vcc_lo, v6, 8
	v_lshlrev_b64_e32 v[13:14], 4, v[0:1]
	v_lshlrev_b64_e32 v[15:16], 4, v[2:3]
	;; [unrolled: 1-line block ×3, first 2 shown]
	v_cmp_gt_i32_e64 s2, s23, v10
	s_wait_alu 0xfffd
	v_add_co_ci_u32_e64 v29, null, 0, v7, vcc_lo
	s_wait_alu 0xfffe
	v_cndmask_b32_e64 v31, 0, 1, s22
	s_lshl_b64 s[4:5], s[8:9], 4
	s_lshl_b64 s[12:13], s[16:17], 4
	;; [unrolled: 1-line block ×3, first 2 shown]
	s_add_nc_u64 s[18:19], s[10:11], 8
	s_branch .LBB11_5
.LBB11_2:                               ;   in Loop: Header=BB11_5 Depth=1
	s_wait_alu 0xfffe
	s_or_b32 exec_lo, exec_lo, s30
	s_wait_loadcnt 0x0
	s_delay_alu instid0(VALU_DEP_1) | instskip(NEXT) | instid1(VALU_DEP_3)
	v_dual_mov_b32 v7, v3 :: v_dual_mov_b32 v6, v2
	v_dual_mov_b32 v5, v1 :: v_dual_mov_b32 v4, v0
.LBB11_3:                               ;   in Loop: Header=BB11_5 Depth=1
	s_mul_u64 s[26:27], s[24:25], s[20:21]
	s_wait_alu 0xfffe
	s_lshl_b64 s[26:27], s[26:27], 4
	s_wait_loadcnt 0x0
	s_wait_alu 0xfffe
	v_add_co_u32 v0, vcc_lo, v9, s26
	s_wait_alu 0xfffd
	v_add_co_ci_u32_e64 v1, null, s27, v23, vcc_lo
	global_store_b128 v[0:1], v[4:7], off
.LBB11_4:                               ;   in Loop: Header=BB11_5 Depth=1
	s_or_b32 exec_lo, exec_lo, s35
	s_add_co_i32 s20, s20, 0x10000
	s_delay_alu instid0(SALU_CYCLE_1)
	s_cmp_lt_u32 s20, s33
	s_cbranch_scc0 .LBB11_21
.LBB11_5:                               ; =>This Loop Header: Depth=1
                                        ;     Child Loop BB11_11 Depth 2
                                        ;     Child Loop BB11_19 Depth 2
	s_and_saveexec_b32 s35, s0
	s_cbranch_execz .LBB11_4
; %bb.6:                                ;   in Loop: Header=BB11_5 Depth=1
	s_mul_u64 s[26:27], s[16:17], s[20:21]
	s_mul_u64 s[28:29], s[8:9], s[20:21]
	s_wait_alu 0xfffe
	s_lshl_b64 s[26:27], s[26:27], 4
	v_cmp_ne_u32_e64 s3, 1, v31
	s_wait_alu 0xfffe
	s_add_nc_u64 s[26:27], s[10:11], s[26:27]
	s_lshl_b64 s[30:31], s[28:29], 4
	s_wait_alu 0xfffe
	v_add_co_u32 v0, vcc_lo, s26, v13
	s_wait_alu 0xfffd
	v_add_co_ci_u32_e64 v1, null, s27, v14, vcc_lo
	s_mul_u64 s[26:27], s[12:13], s[20:21]
	s_mul_u64 s[28:29], s[4:5], s[20:21]
	s_add_nc_u64 s[30:31], s[6:7], s[30:31]
	global_load_b128 v[0:3], v[0:1], off
	s_and_b32 vcc_lo, exec_lo, s34
	s_mov_b32 s36, -1
                                        ; implicit-def: $vgpr6_vgpr7
	s_wait_alu 0xfffe
	s_cbranch_vccz .LBB11_14
; %bb.7:                                ;   in Loop: Header=BB11_5 Depth=1
	s_wait_loadcnt 0x0
	v_dual_mov_b32 v5, v1 :: v_dual_mov_b32 v4, v0
	v_dual_mov_b32 v7, v3 :: v_dual_mov_b32 v6, v2
	s_and_b32 vcc_lo, exec_lo, s3
	s_wait_alu 0xfffe
	s_cbranch_vccnz .LBB11_9
; %bb.8:                                ;   in Loop: Header=BB11_5 Depth=1
	v_add_co_u32 v4, vcc_lo, s30, v15
	s_wait_alu 0xfffd
	v_add_co_ci_u32_e64 v5, null, s31, v16, vcc_lo
	global_load_b128 v[19:22], v[4:5], off
	s_wait_loadcnt 0x0
	v_mul_f64_e32 v[4:5], v[2:3], v[21:22]
	v_mul_f64_e32 v[6:7], v[0:1], v[21:22]
	s_delay_alu instid0(VALU_DEP_2) | instskip(NEXT) | instid1(VALU_DEP_2)
	v_fma_f64 v[4:5], v[0:1], v[19:20], v[4:5]
	v_fma_f64 v[6:7], v[2:3], v[19:20], -v[6:7]
.LBB11_9:                               ;   in Loop: Header=BB11_5 Depth=1
	s_and_saveexec_b32 s36, s2
	s_cbranch_execz .LBB11_13
; %bb.10:                               ;   in Loop: Header=BB11_5 Depth=1
	v_add_co_u32 v19, vcc_lo, v24, s28
	s_wait_alu 0xfffd
	v_add_co_ci_u32_e64 v20, null, s29, v25, vcc_lo
	v_add_co_u32 v21, vcc_lo, v26, s26
	s_wait_alu 0xfffd
	v_add_co_ci_u32_e64 v22, null, s27, v27, vcc_lo
	v_mov_b32_e32 v32, v10
	s_mov_b32 s37, 0
.LBB11_11:                              ;   Parent Loop BB11_5 Depth=1
                                        ; =>  This Inner Loop Header: Depth=2
	global_load_b128 v[33:36], v[19:20], off offset:-8
	global_load_b128 v[37:40], v[21:22], off offset:-8
	v_add_nc_u32_e32 v32, 1, v32
	v_add_co_u32 v19, vcc_lo, v19, 16
	s_wait_alu 0xfffd
	v_add_co_ci_u32_e64 v20, null, 0, v20, vcc_lo
	s_delay_alu instid0(VALU_DEP_3)
	v_cmp_le_i32_e32 vcc_lo, s23, v32
	v_add_co_u32 v21, s3, v21, s14
	s_wait_alu 0xf1ff
	v_add_co_ci_u32_e64 v22, null, s15, v22, s3
	s_or_b32 s37, vcc_lo, s37
	s_wait_loadcnt 0x0
	v_mul_f64_e32 v[41:42], v[35:36], v[39:40]
	v_mul_f64_e32 v[35:36], v[35:36], v[37:38]
	s_delay_alu instid0(VALU_DEP_2) | instskip(NEXT) | instid1(VALU_DEP_2)
	v_fma_f64 v[37:38], v[33:34], v[37:38], v[41:42]
	v_fma_f64 v[33:34], v[33:34], v[39:40], -v[35:36]
	s_delay_alu instid0(VALU_DEP_2) | instskip(NEXT) | instid1(VALU_DEP_2)
	v_add_f64_e32 v[4:5], v[4:5], v[37:38]
	v_add_f64_e32 v[6:7], v[6:7], v[33:34]
	s_and_not1_b32 exec_lo, exec_lo, s37
	s_cbranch_execnz .LBB11_11
; %bb.12:                               ;   in Loop: Header=BB11_5 Depth=1
	s_or_b32 exec_lo, exec_lo, s37
.LBB11_13:                              ;   in Loop: Header=BB11_5 Depth=1
	s_delay_alu instid0(SALU_CYCLE_1)
	s_or_b32 exec_lo, exec_lo, s36
	s_mov_b32 s36, 0
.LBB11_14:                              ;   in Loop: Header=BB11_5 Depth=1
	s_delay_alu instid0(SALU_CYCLE_1)
	s_and_b32 vcc_lo, exec_lo, s36
	s_wait_alu 0xfffe
	s_cbranch_vccz .LBB11_3
; %bb.15:                               ;   in Loop: Header=BB11_5 Depth=1
	s_and_not1_b32 vcc_lo, exec_lo, s22
	s_wait_alu 0xfffe
	s_cbranch_vccnz .LBB11_17
; %bb.16:                               ;   in Loop: Header=BB11_5 Depth=1
	v_add_co_u32 v4, vcc_lo, s30, v17
	s_wait_alu 0xfffd
	v_add_co_ci_u32_e64 v5, null, s31, v18, vcc_lo
	s_delay_alu instid0(VALU_DEP_2) | instskip(SKIP_1) | instid1(VALU_DEP_2)
	v_add_co_u32 v4, vcc_lo, v4, v11
	s_wait_alu 0xfffd
	v_add_co_ci_u32_e64 v5, null, v5, v12, vcc_lo
	global_load_b128 v[4:7], v[4:5], off
	s_wait_loadcnt 0x0
	v_mul_f64_e32 v[19:20], v[2:3], v[6:7]
	v_mul_f64_e32 v[6:7], v[0:1], v[6:7]
	s_delay_alu instid0(VALU_DEP_2) | instskip(NEXT) | instid1(VALU_DEP_2)
	v_fma_f64 v[0:1], v[0:1], v[4:5], v[19:20]
	v_fma_f64 v[2:3], v[2:3], v[4:5], -v[6:7]
.LBB11_17:                              ;   in Loop: Header=BB11_5 Depth=1
	s_and_saveexec_b32 s30, s1
	s_cbranch_execz .LBB11_2
; %bb.18:                               ;   in Loop: Header=BB11_5 Depth=1
	v_add_co_u32 v4, vcc_lo, v28, s28
	s_wait_alu 0xfffd
	v_add_co_ci_u32_e64 v5, null, s29, v29, vcc_lo
	v_mov_b32_e32 v6, v8
	s_add_nc_u64 s[26:27], s[18:19], s[26:27]
	s_mov_b32 s28, 0
.LBB11_19:                              ;   Parent Loop BB11_5 Depth=1
                                        ; =>  This Inner Loop Header: Depth=2
	global_load_b128 v[19:22], v[4:5], off offset:-8
	global_load_b128 v[32:35], v30, s[26:27] offset:-8
	v_add_nc_u32_e32 v6, -1, v6
	v_add_co_u32 v4, s3, v4, 16
	s_wait_alu 0xf1ff
	v_add_co_ci_u32_e64 v5, null, 0, v5, s3
	s_delay_alu instid0(VALU_DEP_3)
	v_cmp_eq_u32_e32 vcc_lo, 0, v6
	s_wait_alu 0xfffe
	s_add_nc_u64 s[26:27], s[26:27], s[14:15]
	s_or_b32 s28, vcc_lo, s28
	s_wait_loadcnt 0x0
	v_mul_f64_e32 v[36:37], v[21:22], v[34:35]
	v_mul_f64_e32 v[21:22], v[21:22], v[32:33]
	s_delay_alu instid0(VALU_DEP_2) | instskip(NEXT) | instid1(VALU_DEP_2)
	v_fma_f64 v[32:33], v[19:20], v[32:33], v[36:37]
	v_fma_f64 v[19:20], v[19:20], v[34:35], -v[21:22]
	s_delay_alu instid0(VALU_DEP_2) | instskip(NEXT) | instid1(VALU_DEP_2)
	v_add_f64_e32 v[0:1], v[0:1], v[32:33]
	v_add_f64_e32 v[2:3], v[2:3], v[19:20]
	s_wait_alu 0xfffe
	s_and_not1_b32 exec_lo, exec_lo, s28
	s_cbranch_execnz .LBB11_19
; %bb.20:                               ;   in Loop: Header=BB11_5 Depth=1
	s_or_b32 exec_lo, exec_lo, s28
	s_branch .LBB11_2
.LBB11_21:
	s_endpgm
	.section	.rodata,"a",@progbits
	.p2align	6, 0x0
	.amdhsa_kernel _ZL20rocblas_tpmvc_kernelILi512EPK19rocblas_complex_numIdEPS1_S4_EvbbiT0_llT1_lllT2_li
		.amdhsa_group_segment_fixed_size 0
		.amdhsa_private_segment_fixed_size 0
		.amdhsa_kernarg_size 344
		.amdhsa_user_sgpr_count 2
		.amdhsa_user_sgpr_dispatch_ptr 0
		.amdhsa_user_sgpr_queue_ptr 0
		.amdhsa_user_sgpr_kernarg_segment_ptr 1
		.amdhsa_user_sgpr_dispatch_id 0
		.amdhsa_user_sgpr_private_segment_size 0
		.amdhsa_wavefront_size32 1
		.amdhsa_uses_dynamic_stack 0
		.amdhsa_enable_private_segment 0
		.amdhsa_system_sgpr_workgroup_id_x 1
		.amdhsa_system_sgpr_workgroup_id_y 0
		.amdhsa_system_sgpr_workgroup_id_z 1
		.amdhsa_system_sgpr_workgroup_info 0
		.amdhsa_system_vgpr_workitem_id 0
		.amdhsa_next_free_vgpr 43
		.amdhsa_next_free_sgpr 38
		.amdhsa_reserve_vcc 1
		.amdhsa_float_round_mode_32 0
		.amdhsa_float_round_mode_16_64 0
		.amdhsa_float_denorm_mode_32 3
		.amdhsa_float_denorm_mode_16_64 3
		.amdhsa_fp16_overflow 0
		.amdhsa_workgroup_processor_mode 1
		.amdhsa_memory_ordered 1
		.amdhsa_forward_progress 1
		.amdhsa_inst_pref_size 12
		.amdhsa_round_robin_scheduling 0
		.amdhsa_exception_fp_ieee_invalid_op 0
		.amdhsa_exception_fp_denorm_src 0
		.amdhsa_exception_fp_ieee_div_zero 0
		.amdhsa_exception_fp_ieee_overflow 0
		.amdhsa_exception_fp_ieee_underflow 0
		.amdhsa_exception_fp_ieee_inexact 0
		.amdhsa_exception_int_div_zero 0
	.end_amdhsa_kernel
	.section	.text._ZL20rocblas_tpmvc_kernelILi512EPK19rocblas_complex_numIdEPS1_S4_EvbbiT0_llT1_lllT2_li,"axG",@progbits,_ZL20rocblas_tpmvc_kernelILi512EPK19rocblas_complex_numIdEPS1_S4_EvbbiT0_llT1_lllT2_li,comdat
.Lfunc_end11:
	.size	_ZL20rocblas_tpmvc_kernelILi512EPK19rocblas_complex_numIdEPS1_S4_EvbbiT0_llT1_lllT2_li, .Lfunc_end11-_ZL20rocblas_tpmvc_kernelILi512EPK19rocblas_complex_numIdEPS1_S4_EvbbiT0_llT1_lllT2_li
                                        ; -- End function
	.set _ZL20rocblas_tpmvc_kernelILi512EPK19rocblas_complex_numIdEPS1_S4_EvbbiT0_llT1_lllT2_li.num_vgpr, 43
	.set _ZL20rocblas_tpmvc_kernelILi512EPK19rocblas_complex_numIdEPS1_S4_EvbbiT0_llT1_lllT2_li.num_agpr, 0
	.set _ZL20rocblas_tpmvc_kernelILi512EPK19rocblas_complex_numIdEPS1_S4_EvbbiT0_llT1_lllT2_li.numbered_sgpr, 38
	.set _ZL20rocblas_tpmvc_kernelILi512EPK19rocblas_complex_numIdEPS1_S4_EvbbiT0_llT1_lllT2_li.num_named_barrier, 0
	.set _ZL20rocblas_tpmvc_kernelILi512EPK19rocblas_complex_numIdEPS1_S4_EvbbiT0_llT1_lllT2_li.private_seg_size, 0
	.set _ZL20rocblas_tpmvc_kernelILi512EPK19rocblas_complex_numIdEPS1_S4_EvbbiT0_llT1_lllT2_li.uses_vcc, 1
	.set _ZL20rocblas_tpmvc_kernelILi512EPK19rocblas_complex_numIdEPS1_S4_EvbbiT0_llT1_lllT2_li.uses_flat_scratch, 0
	.set _ZL20rocblas_tpmvc_kernelILi512EPK19rocblas_complex_numIdEPS1_S4_EvbbiT0_llT1_lllT2_li.has_dyn_sized_stack, 0
	.set _ZL20rocblas_tpmvc_kernelILi512EPK19rocblas_complex_numIdEPS1_S4_EvbbiT0_llT1_lllT2_li.has_recursion, 0
	.set _ZL20rocblas_tpmvc_kernelILi512EPK19rocblas_complex_numIdEPS1_S4_EvbbiT0_llT1_lllT2_li.has_indirect_call, 0
	.section	.AMDGPU.csdata,"",@progbits
; Kernel info:
; codeLenInByte = 1476
; TotalNumSgprs: 40
; NumVgprs: 43
; ScratchSize: 0
; MemoryBound: 0
; FloatMode: 240
; IeeeMode: 1
; LDSByteSize: 0 bytes/workgroup (compile time only)
; SGPRBlocks: 0
; VGPRBlocks: 5
; NumSGPRsForWavesPerEU: 40
; NumVGPRsForWavesPerEU: 43
; Occupancy: 16
; WaveLimiterHint : 0
; COMPUTE_PGM_RSRC2:SCRATCH_EN: 0
; COMPUTE_PGM_RSRC2:USER_SGPR: 2
; COMPUTE_PGM_RSRC2:TRAP_HANDLER: 0
; COMPUTE_PGM_RSRC2:TGID_X_EN: 1
; COMPUTE_PGM_RSRC2:TGID_Y_EN: 0
; COMPUTE_PGM_RSRC2:TGID_Z_EN: 1
; COMPUTE_PGM_RSRC2:TIDIG_COMP_CNT: 0
	.section	.text._ZL20rocblas_tpmvn_kernelILi512EPKPKfPKPfS4_EvbbiT0_llT1_lllT2_li,"axG",@progbits,_ZL20rocblas_tpmvn_kernelILi512EPKPKfPKPfS4_EvbbiT0_llT1_lllT2_li,comdat
	.globl	_ZL20rocblas_tpmvn_kernelILi512EPKPKfPKPfS4_EvbbiT0_llT1_lllT2_li ; -- Begin function _ZL20rocblas_tpmvn_kernelILi512EPKPKfPKPfS4_EvbbiT0_llT1_lllT2_li
	.p2align	8
	.type	_ZL20rocblas_tpmvn_kernelILi512EPKPKfPKPfS4_EvbbiT0_llT1_lllT2_li,@function
_ZL20rocblas_tpmvn_kernelILi512EPKPKfPKPfS4_EvbbiT0_llT1_lllT2_li: ; @_ZL20rocblas_tpmvn_kernelILi512EPKPKfPKPfS4_EvbbiT0_llT1_lllT2_li
; %bb.0:
	s_load_b32 s33, s[0:1], 0x50
	s_lshr_b32 s16, ttmp7, 16
	s_wait_kmcnt 0x0
	s_cmp_ge_u32 s16, s33
	s_cbranch_scc1 .LBB12_21
; %bb.1:
	s_clause 0x6
	s_load_b32 s2, s[0:1], 0x0
	s_load_b64 s[18:19], s[0:1], 0x0
	s_load_b32 s3, s[0:1], 0x64
	s_load_b128 s[4:7], s[0:1], 0x20
	s_load_b64 s[22:23], s[0:1], 0x30
	s_load_b128 s[8:11], s[0:1], 0x8
	s_load_b128 s[12:15], s[0:1], 0x40
	s_wait_kmcnt 0x0
	s_bitcmp1_b32 s2, 0
	s_mov_b32 s20, s19
	s_cselect_b32 s2, -1, 0
	s_delay_alu instid0(SALU_CYCLE_1)
	s_xor_b32 s36, s2, -1
	s_bitcmp1_b32 s18, 8
	s_cselect_b32 s17, -1, 0
	s_and_b32 s2, s3, 0xffff
	s_lshl_b64 s[6:7], s[6:7], 2
	v_mad_co_u64_u32 v[0:1], null, ttmp9, s2, v[0:1]
	s_xor_b32 s18, s17, -1
	s_ashr_i32 s21, s19, 31
	v_cndmask_b32_e64 v23, 0, 1, s18
	s_mov_b32 s17, 0
	s_lshl_b64 s[10:11], s[10:11], 2
	v_ashrrev_i32_e32 v1, 31, v0
	v_add_co_u32 v3, vcc_lo, v0, -1
	v_add_nc_u32_e32 v2, 1, v0
	v_mul_lo_u32 v18, s23, v0
	s_delay_alu instid0(VALU_DEP_4) | instskip(NEXT) | instid1(VALU_DEP_4)
	v_add_co_ci_u32_e64 v5, null, -1, v1, vcc_lo
	v_mul_lo_u32 v20, v3, v1
	v_mad_co_u64_u32 v[10:11], null, v3, v0, 0
	s_delay_alu instid0(VALU_DEP_3)
	v_mul_lo_u32 v5, v5, v0
	v_ashrrev_i32_e32 v3, 31, v2
	v_mad_co_u64_u32 v[8:9], null, s22, v0, 0
	v_mul_lo_u32 v19, s22, v1
	v_mad_co_i64_i32 v[14:15], null, v2, v0, 0
	v_mul_lo_u32 v21, s23, v2
	v_mad_co_u64_u32 v[16:17], null, s22, v2, 0
	v_mul_lo_u32 v22, s22, v3
	v_add3_u32 v11, v11, v20, v5
	v_mad_co_i64_i32 v[12:13], null, v0, s19, 0
	v_lshlrev_b64_e32 v[6:7], 2, v[0:1]
	v_add3_u32 v9, v9, v19, v18
	v_lshrrev_b64 v[14:15], 1, v[14:15]
	v_lshrrev_b64 v[18:19], 1, v[10:11]
	v_add3_u32 v17, v17, v22, v21
	v_add_nc_u32_e32 v4, 2, v0
	v_add_co_u32 v1, vcc_lo, s12, v6
	s_wait_alu 0xfffd
	v_add_co_ci_u32_e64 v20, null, s13, v7, vcc_lo
	v_lshlrev_b64_e32 v[10:11], 2, v[14:15]
	v_lshlrev_b64_e32 v[14:15], 2, v[16:17]
	v_sub_co_u32 v12, vcc_lo, v12, v18
	s_wait_alu 0xfffd
	v_sub_co_ci_u32_e64 v13, null, v13, v19, vcc_lo
	v_lshlrev_b64_e32 v[8:9], 2, v[8:9]
	s_delay_alu instid0(VALU_DEP_4) | instskip(NEXT) | instid1(VALU_DEP_3)
	v_add_co_u32 v21, vcc_lo, v14, s6
	v_lshlrev_b64_e32 v[12:13], 2, v[12:13]
	v_cmp_gt_i32_e64 s0, s19, v0
	v_cmp_lt_i32_e64 s1, 0, v0
	v_cmp_gt_i32_e64 s2, s19, v2
	v_ashrrev_i32_e32 v5, 31, v4
	s_wait_alu 0xfffd
	v_add_co_ci_u32_e64 v22, null, s7, v15, vcc_lo
	s_lshl_b64 s[12:13], s[22:23], 2
	s_branch .LBB12_5
.LBB12_2:                               ;   in Loop: Header=BB12_5 Depth=1
	s_wait_alu 0xfffe
	s_or_b32 exec_lo, exec_lo, s26
	s_wait_loadcnt_dscnt 0x0
	v_mov_b32_e32 v14, v24
.LBB12_3:                               ;   in Loop: Header=BB12_5 Depth=1
	s_mul_u64 s[22:23], s[14:15], s[16:17]
	s_wait_alu 0xfffe
	s_lshl_b64 s[22:23], s[22:23], 2
	s_wait_alu 0xfffe
	v_add_co_u32 v15, vcc_lo, v1, s22
	s_wait_alu 0xfffd
	v_add_co_ci_u32_e64 v16, null, s23, v20, vcc_lo
	global_store_b32 v[15:16], v14, off
.LBB12_4:                               ;   in Loop: Header=BB12_5 Depth=1
	s_or_b32 exec_lo, exec_lo, s37
	s_add_co_i32 s16, s16, 0x10000
	s_delay_alu instid0(SALU_CYCLE_1)
	s_cmp_lt_u32 s16, s33
	s_cbranch_scc0 .LBB12_21
.LBB12_5:                               ; =>This Loop Header: Depth=1
                                        ;     Child Loop BB12_11 Depth 2
                                        ;     Child Loop BB12_19 Depth 2
	s_and_saveexec_b32 s37, s0
	s_cbranch_execz .LBB12_4
; %bb.6:                                ;   in Loop: Header=BB12_5 Depth=1
	s_lshl_b64 s[24:25], s[16:17], 3
	v_cmp_ne_u32_e64 s3, 1, v23
	s_wait_alu 0xfffe
	s_add_nc_u64 s[22:23], s[4:5], s[24:25]
	s_add_nc_u64 s[24:25], s[8:9], s[24:25]
	s_load_b64 s[22:23], s[22:23], 0x0
	s_load_b64 s[24:25], s[24:25], 0x0
	s_mov_b32 s28, -1
	s_wait_kmcnt 0x0
	s_add_nc_u64 s[26:27], s[22:23], s[6:7]
	s_add_nc_u64 s[24:25], s[24:25], s[10:11]
	s_wait_alu 0xfffe
	v_add_co_u32 v14, vcc_lo, s26, v8
	s_wait_alu 0xfffd
	v_add_co_ci_u32_e64 v15, null, s27, v9, vcc_lo
	s_and_b32 vcc_lo, exec_lo, s36
	s_wait_loadcnt_dscnt 0x0
	flat_load_b32 v24, v[14:15]
                                        ; implicit-def: $vgpr14
	s_wait_alu 0xfffe
	s_cbranch_vccz .LBB12_14
; %bb.7:                                ;   in Loop: Header=BB12_5 Depth=1
	s_wait_loadcnt_dscnt 0x0
	v_mov_b32_e32 v14, v24
	s_and_b32 vcc_lo, exec_lo, s3
	s_wait_alu 0xfffe
	s_cbranch_vccnz .LBB12_9
; %bb.8:                                ;   in Loop: Header=BB12_5 Depth=1
	v_add_co_u32 v14, vcc_lo, s24, v12
	s_wait_alu 0xfffd
	v_add_co_ci_u32_e64 v15, null, s25, v13, vcc_lo
	flat_load_b32 v14, v[14:15]
	s_wait_loadcnt_dscnt 0x0
	v_mul_f32_e32 v14, v24, v14
.LBB12_9:                               ;   in Loop: Header=BB12_5 Depth=1
	s_and_saveexec_b32 s3, s1
	s_cbranch_execz .LBB12_13
; %bb.10:                               ;   in Loop: Header=BB12_5 Depth=1
	v_mov_b32_e32 v15, v0
	s_mov_b64 s[28:29], 0
	s_mov_b32 s38, 0
	s_mov_b64 s[34:35], 0
	s_mov_b64 s[30:31], 0
.LBB12_11:                              ;   Parent Loop BB12_5 Depth=1
                                        ; =>  This Inner Loop Header: Depth=2
	s_wait_alu 0xfffe
	v_add_co_u32 v16, s39, s30, v15
	s_wait_alu 0xf1ff
	v_add_co_ci_u32_e64 v17, null, s31, 0, s39
	s_lshr_b64 s[40:41], s[28:29], 1
	v_dual_mov_b32 v18, s26 :: v_dual_mov_b32 v19, s27
	s_wait_alu 0xfffe
	v_sub_co_u32 v16, vcc_lo, v16, s40
	s_wait_alu 0xfffd
	v_subrev_co_ci_u32_e64 v17, null, s41, v17, vcc_lo
	s_add_nc_u64 s[40:41], s[34:35], 2
	s_add_nc_u64 s[26:27], s[26:27], s[12:13]
	;; [unrolled: 1-line block ×3, first 2 shown]
	v_lshlrev_b64_e32 v[16:17], 2, v[16:17]
	s_add_nc_u64 s[28:29], s[28:29], s[34:35]
	s_wait_alu 0xfffe
	s_mov_b64 s[34:35], s[40:41]
	s_delay_alu instid0(VALU_DEP_1)
	v_add_co_u32 v16, vcc_lo, s24, v16
	s_wait_alu 0xfffd
	v_add_co_ci_u32_e64 v17, null, s25, v17, vcc_lo
	flat_load_b32 v18, v[18:19]
	flat_load_b32 v16, v[16:17]
	s_wait_loadcnt_dscnt 0x0
	v_dual_fmac_f32 v14, v16, v18 :: v_dual_add_nc_u32 v15, -1, v15
	s_delay_alu instid0(VALU_DEP_1)
	v_cmp_eq_u32_e32 vcc_lo, 0, v15
	s_or_b32 s38, vcc_lo, s38
	s_wait_alu 0xfffe
	s_and_not1_b32 exec_lo, exec_lo, s38
	s_cbranch_execnz .LBB12_11
; %bb.12:                               ;   in Loop: Header=BB12_5 Depth=1
	s_or_b32 exec_lo, exec_lo, s38
.LBB12_13:                              ;   in Loop: Header=BB12_5 Depth=1
	s_wait_alu 0xfffe
	s_or_b32 exec_lo, exec_lo, s3
	s_mov_b32 s28, 0
.LBB12_14:                              ;   in Loop: Header=BB12_5 Depth=1
	s_delay_alu instid0(SALU_CYCLE_1)
	s_and_b32 vcc_lo, exec_lo, s28
	s_wait_alu 0xfffe
	s_cbranch_vccz .LBB12_3
; %bb.15:                               ;   in Loop: Header=BB12_5 Depth=1
	s_and_not1_b32 vcc_lo, exec_lo, s18
	s_wait_alu 0xfffe
	s_cbranch_vccnz .LBB12_17
; %bb.16:                               ;   in Loop: Header=BB12_5 Depth=1
	v_add_co_u32 v14, vcc_lo, s24, v10
	s_wait_alu 0xfffd
	v_add_co_ci_u32_e64 v15, null, s25, v11, vcc_lo
	s_delay_alu instid0(VALU_DEP_2) | instskip(SKIP_1) | instid1(VALU_DEP_2)
	v_add_co_u32 v14, vcc_lo, v14, v6
	s_wait_alu 0xfffd
	v_add_co_ci_u32_e64 v15, null, v15, v7, vcc_lo
	flat_load_b32 v14, v[14:15]
	s_wait_loadcnt_dscnt 0x0
	v_mul_f32_e32 v24, v24, v14
.LBB12_17:                              ;   in Loop: Header=BB12_5 Depth=1
	s_and_saveexec_b32 s26, s2
	s_cbranch_execz .LBB12_2
; %bb.18:                               ;   in Loop: Header=BB12_5 Depth=1
	v_add_co_u32 v25, vcc_lo, s24, v6
	s_wait_alu 0xfffd
	v_add_co_ci_u32_e64 v26, null, s25, v7, vcc_lo
	v_add_co_u32 v14, vcc_lo, s22, v21
	s_wait_alu 0xfffd
	v_add_co_ci_u32_e64 v15, null, s23, v22, vcc_lo
	v_dual_mov_b32 v19, v3 :: v_dual_mov_b32 v18, v2
	v_dual_mov_b32 v17, v5 :: v_dual_mov_b32 v16, v4
	s_mov_b32 s22, 0
.LBB12_19:                              ;   Parent Loop BB12_5 Depth=1
                                        ; =>  This Inner Loop Header: Depth=2
	s_delay_alu instid0(VALU_DEP_1) | instskip(NEXT) | instid1(VALU_DEP_2)
	v_mul_lo_u32 v29, v17, v18
	v_mul_lo_u32 v30, v16, v19
	v_mad_co_u64_u32 v[27:28], null, v16, v18, 0
	s_delay_alu instid0(VALU_DEP_1) | instskip(NEXT) | instid1(VALU_DEP_1)
	v_add3_u32 v28, v28, v30, v29
	v_lshlrev_b64_e32 v[27:28], 1, v[27:28]
	s_delay_alu instid0(VALU_DEP_1) | instskip(NEXT) | instid1(VALU_DEP_1)
	v_and_b32_e32 v27, -4, v27
	v_add_co_u32 v27, vcc_lo, v25, v27
	s_wait_alu 0xfffd
	s_delay_alu instid0(VALU_DEP_3)
	v_add_co_ci_u32_e64 v28, null, v26, v28, vcc_lo
	flat_load_b32 v29, v[14:15]
	flat_load_b32 v27, v[27:28]
	v_add_co_u32 v18, vcc_lo, v18, 1
	s_wait_alu 0xfffd
	v_add_co_ci_u32_e64 v19, null, 0, v19, vcc_lo
	v_add_co_u32 v16, vcc_lo, v16, 1
	s_wait_alu 0xfffd
	v_add_co_ci_u32_e64 v17, null, 0, v17, vcc_lo
	v_add_co_u32 v14, vcc_lo, v14, s12
	v_cmp_le_i32_e64 s3, s19, v18
	s_wait_alu 0xfffd
	v_add_co_ci_u32_e64 v15, null, s13, v15, vcc_lo
	s_wait_alu 0xfffe
	s_delay_alu instid0(VALU_DEP_2)
	s_or_b32 s22, s3, s22
	s_wait_loadcnt_dscnt 0x0
	v_fmac_f32_e32 v24, v27, v29
	s_wait_alu 0xfffe
	s_and_not1_b32 exec_lo, exec_lo, s22
	s_cbranch_execnz .LBB12_19
; %bb.20:                               ;   in Loop: Header=BB12_5 Depth=1
	s_or_b32 exec_lo, exec_lo, s22
	s_branch .LBB12_2
.LBB12_21:
	s_endpgm
	.section	.rodata,"a",@progbits
	.p2align	6, 0x0
	.amdhsa_kernel _ZL20rocblas_tpmvn_kernelILi512EPKPKfPKPfS4_EvbbiT0_llT1_lllT2_li
		.amdhsa_group_segment_fixed_size 0
		.amdhsa_private_segment_fixed_size 0
		.amdhsa_kernarg_size 344
		.amdhsa_user_sgpr_count 2
		.amdhsa_user_sgpr_dispatch_ptr 0
		.amdhsa_user_sgpr_queue_ptr 0
		.amdhsa_user_sgpr_kernarg_segment_ptr 1
		.amdhsa_user_sgpr_dispatch_id 0
		.amdhsa_user_sgpr_private_segment_size 0
		.amdhsa_wavefront_size32 1
		.amdhsa_uses_dynamic_stack 0
		.amdhsa_enable_private_segment 0
		.amdhsa_system_sgpr_workgroup_id_x 1
		.amdhsa_system_sgpr_workgroup_id_y 0
		.amdhsa_system_sgpr_workgroup_id_z 1
		.amdhsa_system_sgpr_workgroup_info 0
		.amdhsa_system_vgpr_workitem_id 0
		.amdhsa_next_free_vgpr 31
		.amdhsa_next_free_sgpr 42
		.amdhsa_reserve_vcc 1
		.amdhsa_float_round_mode_32 0
		.amdhsa_float_round_mode_16_64 0
		.amdhsa_float_denorm_mode_32 3
		.amdhsa_float_denorm_mode_16_64 3
		.amdhsa_fp16_overflow 0
		.amdhsa_workgroup_processor_mode 1
		.amdhsa_memory_ordered 1
		.amdhsa_forward_progress 1
		.amdhsa_inst_pref_size 11
		.amdhsa_round_robin_scheduling 0
		.amdhsa_exception_fp_ieee_invalid_op 0
		.amdhsa_exception_fp_denorm_src 0
		.amdhsa_exception_fp_ieee_div_zero 0
		.amdhsa_exception_fp_ieee_overflow 0
		.amdhsa_exception_fp_ieee_underflow 0
		.amdhsa_exception_fp_ieee_inexact 0
		.amdhsa_exception_int_div_zero 0
	.end_amdhsa_kernel
	.section	.text._ZL20rocblas_tpmvn_kernelILi512EPKPKfPKPfS4_EvbbiT0_llT1_lllT2_li,"axG",@progbits,_ZL20rocblas_tpmvn_kernelILi512EPKPKfPKPfS4_EvbbiT0_llT1_lllT2_li,comdat
.Lfunc_end12:
	.size	_ZL20rocblas_tpmvn_kernelILi512EPKPKfPKPfS4_EvbbiT0_llT1_lllT2_li, .Lfunc_end12-_ZL20rocblas_tpmvn_kernelILi512EPKPKfPKPfS4_EvbbiT0_llT1_lllT2_li
                                        ; -- End function
	.set _ZL20rocblas_tpmvn_kernelILi512EPKPKfPKPfS4_EvbbiT0_llT1_lllT2_li.num_vgpr, 31
	.set _ZL20rocblas_tpmvn_kernelILi512EPKPKfPKPfS4_EvbbiT0_llT1_lllT2_li.num_agpr, 0
	.set _ZL20rocblas_tpmvn_kernelILi512EPKPKfPKPfS4_EvbbiT0_llT1_lllT2_li.numbered_sgpr, 42
	.set _ZL20rocblas_tpmvn_kernelILi512EPKPKfPKPfS4_EvbbiT0_llT1_lllT2_li.num_named_barrier, 0
	.set _ZL20rocblas_tpmvn_kernelILi512EPKPKfPKPfS4_EvbbiT0_llT1_lllT2_li.private_seg_size, 0
	.set _ZL20rocblas_tpmvn_kernelILi512EPKPKfPKPfS4_EvbbiT0_llT1_lllT2_li.uses_vcc, 1
	.set _ZL20rocblas_tpmvn_kernelILi512EPKPKfPKPfS4_EvbbiT0_llT1_lllT2_li.uses_flat_scratch, 0
	.set _ZL20rocblas_tpmvn_kernelILi512EPKPKfPKPfS4_EvbbiT0_llT1_lllT2_li.has_dyn_sized_stack, 0
	.set _ZL20rocblas_tpmvn_kernelILi512EPKPKfPKPfS4_EvbbiT0_llT1_lllT2_li.has_recursion, 0
	.set _ZL20rocblas_tpmvn_kernelILi512EPKPKfPKPfS4_EvbbiT0_llT1_lllT2_li.has_indirect_call, 0
	.section	.AMDGPU.csdata,"",@progbits
; Kernel info:
; codeLenInByte = 1300
; TotalNumSgprs: 44
; NumVgprs: 31
; ScratchSize: 0
; MemoryBound: 0
; FloatMode: 240
; IeeeMode: 1
; LDSByteSize: 0 bytes/workgroup (compile time only)
; SGPRBlocks: 0
; VGPRBlocks: 3
; NumSGPRsForWavesPerEU: 44
; NumVGPRsForWavesPerEU: 31
; Occupancy: 16
; WaveLimiterHint : 1
; COMPUTE_PGM_RSRC2:SCRATCH_EN: 0
; COMPUTE_PGM_RSRC2:USER_SGPR: 2
; COMPUTE_PGM_RSRC2:TRAP_HANDLER: 0
; COMPUTE_PGM_RSRC2:TGID_X_EN: 1
; COMPUTE_PGM_RSRC2:TGID_Y_EN: 0
; COMPUTE_PGM_RSRC2:TGID_Z_EN: 1
; COMPUTE_PGM_RSRC2:TIDIG_COMP_CNT: 0
	.section	.text._ZL20rocblas_tpmvt_kernelILi512EPKPKfPKPfS4_EvbbiT0_llT1_lllT2_li,"axG",@progbits,_ZL20rocblas_tpmvt_kernelILi512EPKPKfPKPfS4_EvbbiT0_llT1_lllT2_li,comdat
	.globl	_ZL20rocblas_tpmvt_kernelILi512EPKPKfPKPfS4_EvbbiT0_llT1_lllT2_li ; -- Begin function _ZL20rocblas_tpmvt_kernelILi512EPKPKfPKPfS4_EvbbiT0_llT1_lllT2_li
	.p2align	8
	.type	_ZL20rocblas_tpmvt_kernelILi512EPKPKfPKPfS4_EvbbiT0_llT1_lllT2_li,@function
_ZL20rocblas_tpmvt_kernelILi512EPKPKfPKPfS4_EvbbiT0_llT1_lllT2_li: ; @_ZL20rocblas_tpmvt_kernelILi512EPKPKfPKPfS4_EvbbiT0_llT1_lllT2_li
; %bb.0:
	s_load_b32 s28, s[0:1], 0x50
	s_lshr_b32 s16, ttmp7, 16
	s_wait_kmcnt 0x0
	s_cmp_ge_u32 s16, s28
	s_cbranch_scc1 .LBB13_21
; %bb.1:
	s_clause 0x6
	s_load_b32 s2, s[0:1], 0x0
	s_load_b64 s[18:19], s[0:1], 0x0
	s_load_b32 s3, s[0:1], 0x64
	s_load_b128 s[4:7], s[0:1], 0x8
	s_load_b64 s[20:21], s[0:1], 0x30
	s_load_b128 s[8:11], s[0:1], 0x20
	s_load_b128 s[12:15], s[0:1], 0x40
	s_wait_kmcnt 0x0
	s_bitcmp1_b32 s2, 0
	s_cselect_b32 s2, -1, 0
	s_delay_alu instid0(SALU_CYCLE_1)
	s_xor_b32 s29, s2, -1
	s_bitcmp1_b32 s18, 8
	s_cselect_b32 s17, -1, 0
	s_and_b32 s2, s3, 0xffff
	s_ashr_i32 s3, s19, 31
	v_mad_co_u64_u32 v[0:1], null, ttmp9, s2, v[0:1]
	s_mov_b32 s2, s19
	s_lshl_b64 s[6:7], s[6:7], 2
	s_wait_alu 0xfffe
	s_lshl_b64 s[0:1], s[2:3], 2
	s_lshl_b64 s[10:11], s[10:11], 2
	s_wait_alu 0xfffe
	s_add_nc_u64 s[22:23], s[0:1], -4
	s_xor_b32 s18, s17, -1
	v_ashrrev_i32_e32 v1, 31, v0
	v_add_nc_u32_e32 v2, 1, v0
	v_add_co_u32 v3, vcc_lo, v0, -1
	v_mad_co_i64_i32 v[8:9], null, v0, s19, 0
	s_delay_alu instid0(VALU_DEP_4) | instskip(NEXT) | instid1(VALU_DEP_4)
	v_add_co_ci_u32_e64 v4, null, -1, v1, vcc_lo
	v_mad_co_u64_u32 v[12:13], null, v2, v0, 0
	s_delay_alu instid0(VALU_DEP_4) | instskip(SKIP_1) | instid1(VALU_DEP_4)
	v_mul_lo_u32 v5, v3, v1
	v_mad_co_u64_u32 v[14:15], null, v3, v0, 0
	v_mul_lo_u32 v20, v4, v0
	v_ashrrev_i32_e32 v3, 31, v2
	v_mul_lo_u32 v26, s21, v2
	v_mov_b32_e32 v4, v13
	v_mad_co_u64_u32 v[18:19], null, s20, v2, 0
	s_delay_alu instid0(VALU_DEP_4)
	v_mul_lo_u32 v13, s20, v3
	v_mul_lo_u32 v24, s23, v0
	v_add3_u32 v15, v15, v5, v20
	v_mad_co_u64_u32 v[20:21], null, v2, v1, v[4:5]
	v_mad_co_u64_u32 v[10:11], null, s22, v0, s[6:7]
	v_mul_lo_u32 v27, s22, v1
	s_delay_alu instid0(VALU_DEP_4)
	v_lshrrev_b64 v[14:15], 1, v[14:15]
	v_lshlrev_b64_e32 v[4:5], 2, v[0:1]
	v_add3_u32 v19, v19, v13, v26
	v_mov_b32_e32 v13, v20
	v_lshlrev_b64_e32 v[21:22], 2, v[2:3]
	v_mad_co_i64_i32 v[16:17], null, v2, v0, 0
	v_sub_co_u32 v8, vcc_lo, v8, v14
	v_mul_lo_u32 v23, s21, v0
	v_mad_co_u64_u32 v[6:7], null, s20, v0, 0
	v_mul_lo_u32 v25, s20, v1
	v_add3_u32 v11, v24, v11, v27
	s_wait_alu 0xfffd
	v_sub_co_ci_u32_e64 v9, null, v9, v15, vcc_lo
	v_add_co_u32 v1, vcc_lo, s12, v4
	s_wait_alu 0xfffd
	v_add_co_ci_u32_e64 v3, null, s13, v5, vcc_lo
	v_lshlrev_b64_e32 v[18:19], 2, v[18:19]
	v_add_co_u32 v20, vcc_lo, v10, v21
	s_wait_alu 0xfffd
	v_add_co_ci_u32_e64 v21, null, v11, v22, vcc_lo
	v_lshlrev_b64_e32 v[10:11], 2, v[14:15]
	v_lshrrev_b64 v[16:17], 1, v[16:17]
	v_lshrrev_b64 v[12:13], 1, v[12:13]
	v_add3_u32 v7, v7, v25, v23
	v_add_co_u32 v18, vcc_lo, v18, s10
	s_wait_alu 0xfffd
	v_add_co_ci_u32_e64 v19, null, s11, v19, vcc_lo
	v_sub_co_u32 v20, vcc_lo, v20, v10
	s_wait_alu 0xfffd
	v_sub_co_ci_u32_e64 v21, null, v21, v11, vcc_lo
	v_lshlrev_b64_e32 v[6:7], 2, v[6:7]
	v_lshlrev_b64_e32 v[8:9], 2, v[8:9]
	;; [unrolled: 1-line block ×4, first 2 shown]
	v_cmp_gt_i32_e64 s0, s19, v0
	v_cmp_lt_i32_e64 s1, 0, v0
	v_cmp_gt_i32_e64 s2, s19, v2
	v_cndmask_b32_e64 v22, 0, 1, s18
	s_mov_b32 s17, 0
	s_lshl_b64 s[12:13], s[20:21], 2
	s_branch .LBB13_5
.LBB13_2:                               ;   in Loop: Header=BB13_5 Depth=1
	s_wait_alu 0xfffe
	s_or_b32 exec_lo, exec_lo, s24
	s_wait_loadcnt_dscnt 0x0
	v_mov_b32_e32 v24, v23
.LBB13_3:                               ;   in Loop: Header=BB13_5 Depth=1
	s_mul_u64 s[20:21], s[14:15], s[16:17]
	s_wait_alu 0xfffe
	s_lshl_b64 s[20:21], s[20:21], 2
	s_wait_alu 0xfffe
	v_add_co_u32 v14, vcc_lo, v1, s20
	s_wait_alu 0xfffd
	v_add_co_ci_u32_e64 v15, null, s21, v3, vcc_lo
	global_store_b32 v[14:15], v24, off
.LBB13_4:                               ;   in Loop: Header=BB13_5 Depth=1
	s_or_b32 exec_lo, exec_lo, s30
	s_add_co_i32 s16, s16, 0x10000
	s_delay_alu instid0(SALU_CYCLE_1)
	s_cmp_lt_u32 s16, s28
	s_cbranch_scc0 .LBB13_21
.LBB13_5:                               ; =>This Loop Header: Depth=1
                                        ;     Child Loop BB13_11 Depth 2
                                        ;     Child Loop BB13_19 Depth 2
	s_and_saveexec_b32 s30, s0
	s_cbranch_execz .LBB13_4
; %bb.6:                                ;   in Loop: Header=BB13_5 Depth=1
	s_lshl_b64 s[22:23], s[16:17], 3
	v_cmp_ne_u32_e64 s3, 1, v22
	s_wait_alu 0xfffe
	s_add_nc_u64 s[20:21], s[8:9], s[22:23]
	s_add_nc_u64 s[22:23], s[4:5], s[22:23]
	s_load_b64 s[24:25], s[20:21], 0x0
	s_load_b64 s[26:27], s[22:23], 0x0
	s_mov_b32 s31, -1
                                        ; implicit-def: $vgpr24
	s_wait_kmcnt 0x0
	s_add_nc_u64 s[20:21], s[24:25], s[10:11]
	s_add_nc_u64 s[22:23], s[26:27], s[6:7]
	s_wait_alu 0xfffe
	v_add_co_u32 v14, vcc_lo, s20, v6
	s_wait_alu 0xfffd
	v_add_co_ci_u32_e64 v15, null, s21, v7, vcc_lo
	s_and_b32 vcc_lo, exec_lo, s29
	s_wait_loadcnt_dscnt 0x0
	flat_load_b32 v23, v[14:15]
	s_wait_alu 0xfffe
	s_cbranch_vccz .LBB13_14
; %bb.7:                                ;   in Loop: Header=BB13_5 Depth=1
	s_wait_loadcnt_dscnt 0x0
	v_mov_b32_e32 v24, v23
	s_and_b32 vcc_lo, exec_lo, s3
	s_wait_alu 0xfffe
	s_cbranch_vccnz .LBB13_9
; %bb.8:                                ;   in Loop: Header=BB13_5 Depth=1
	v_add_co_u32 v14, vcc_lo, s22, v8
	s_wait_alu 0xfffd
	v_add_co_ci_u32_e64 v15, null, s23, v9, vcc_lo
	flat_load_b32 v14, v[14:15]
	s_wait_loadcnt_dscnt 0x0
	v_mul_f32_e32 v24, v23, v14
.LBB13_9:                               ;   in Loop: Header=BB13_5 Depth=1
	s_and_saveexec_b32 s31, s2
	s_cbranch_execz .LBB13_13
; %bb.10:                               ;   in Loop: Header=BB13_5 Depth=1
	v_add_co_u32 v14, vcc_lo, s24, v18
	s_wait_alu 0xfffd
	v_add_co_ci_u32_e64 v15, null, s25, v19, vcc_lo
	v_add_co_u32 v16, vcc_lo, s26, v20
	s_wait_alu 0xfffd
	v_add_co_ci_u32_e64 v17, null, s27, v21, vcc_lo
	v_mov_b32_e32 v25, v2
	s_mov_b32 s24, 0
.LBB13_11:                              ;   Parent Loop BB13_5 Depth=1
                                        ; =>  This Inner Loop Header: Depth=2
	flat_load_b32 v26, v[16:17]
	flat_load_b32 v27, v[14:15]
	v_add_nc_u32_e32 v25, 1, v25
	v_add_co_u32 v14, vcc_lo, v14, s12
	s_wait_alu 0xfffd
	v_add_co_ci_u32_e64 v15, null, s13, v15, vcc_lo
	v_add_co_u32 v16, vcc_lo, v16, 4
	s_wait_alu 0xfffd
	v_add_co_ci_u32_e64 v17, null, 0, v17, vcc_lo
	s_wait_loadcnt_dscnt 0x0
	v_fmac_f32_e32 v24, v26, v27
	v_cmp_le_i32_e64 s3, s19, v25
	s_wait_alu 0xfffe
	s_or_b32 s24, s3, s24
	s_wait_alu 0xfffe
	s_and_not1_b32 exec_lo, exec_lo, s24
	s_cbranch_execnz .LBB13_11
; %bb.12:                               ;   in Loop: Header=BB13_5 Depth=1
	s_or_b32 exec_lo, exec_lo, s24
.LBB13_13:                              ;   in Loop: Header=BB13_5 Depth=1
	s_delay_alu instid0(SALU_CYCLE_1)
	s_or_b32 exec_lo, exec_lo, s31
	s_mov_b32 s31, 0
.LBB13_14:                              ;   in Loop: Header=BB13_5 Depth=1
	s_delay_alu instid0(SALU_CYCLE_1)
	s_and_b32 vcc_lo, exec_lo, s31
	s_wait_alu 0xfffe
	s_cbranch_vccz .LBB13_3
; %bb.15:                               ;   in Loop: Header=BB13_5 Depth=1
	s_and_not1_b32 vcc_lo, exec_lo, s18
	s_wait_alu 0xfffe
	s_cbranch_vccnz .LBB13_17
; %bb.16:                               ;   in Loop: Header=BB13_5 Depth=1
	v_add_co_u32 v14, vcc_lo, s22, v10
	s_wait_alu 0xfffd
	v_add_co_ci_u32_e64 v15, null, s23, v11, vcc_lo
	s_delay_alu instid0(VALU_DEP_2) | instskip(SKIP_1) | instid1(VALU_DEP_2)
	v_add_co_u32 v14, vcc_lo, v14, v4
	s_wait_alu 0xfffd
	v_add_co_ci_u32_e64 v15, null, v15, v5, vcc_lo
	flat_load_b32 v14, v[14:15]
	s_wait_loadcnt_dscnt 0x0
	v_mul_f32_e32 v23, v23, v14
.LBB13_17:                              ;   in Loop: Header=BB13_5 Depth=1
	s_and_saveexec_b32 s24, s1
	s_cbranch_execz .LBB13_2
; %bb.18:                               ;   in Loop: Header=BB13_5 Depth=1
	v_add_co_u32 v14, vcc_lo, s22, v12
	s_wait_alu 0xfffd
	v_add_co_ci_u32_e64 v15, null, s23, v13, vcc_lo
	v_mov_b32_e32 v16, v0
	s_mov_b32 s22, 0
.LBB13_19:                              ;   Parent Loop BB13_5 Depth=1
                                        ; =>  This Inner Loop Header: Depth=2
	v_dual_mov_b32 v25, s21 :: v_dual_mov_b32 v24, s20
	s_delay_alu instid0(VALU_DEP_2)
	v_add_nc_u32_e32 v16, -1, v16
	s_add_nc_u64 s[20:21], s[20:21], s[12:13]
	flat_load_b32 v17, v[14:15]
	flat_load_b32 v24, v[24:25]
	v_add_co_u32 v14, vcc_lo, v14, 4
	v_cmp_eq_u32_e64 s3, 0, v16
	s_wait_alu 0xfffd
	v_add_co_ci_u32_e64 v15, null, 0, v15, vcc_lo
	s_wait_alu 0xfffe
	s_delay_alu instid0(VALU_DEP_2)
	s_or_b32 s22, s3, s22
	s_wait_loadcnt_dscnt 0x0
	v_fmac_f32_e32 v23, v17, v24
	s_wait_alu 0xfffe
	s_and_not1_b32 exec_lo, exec_lo, s22
	s_cbranch_execnz .LBB13_19
; %bb.20:                               ;   in Loop: Header=BB13_5 Depth=1
	s_or_b32 exec_lo, exec_lo, s22
	s_branch .LBB13_2
.LBB13_21:
	s_endpgm
	.section	.rodata,"a",@progbits
	.p2align	6, 0x0
	.amdhsa_kernel _ZL20rocblas_tpmvt_kernelILi512EPKPKfPKPfS4_EvbbiT0_llT1_lllT2_li
		.amdhsa_group_segment_fixed_size 0
		.amdhsa_private_segment_fixed_size 0
		.amdhsa_kernarg_size 344
		.amdhsa_user_sgpr_count 2
		.amdhsa_user_sgpr_dispatch_ptr 0
		.amdhsa_user_sgpr_queue_ptr 0
		.amdhsa_user_sgpr_kernarg_segment_ptr 1
		.amdhsa_user_sgpr_dispatch_id 0
		.amdhsa_user_sgpr_private_segment_size 0
		.amdhsa_wavefront_size32 1
		.amdhsa_uses_dynamic_stack 0
		.amdhsa_enable_private_segment 0
		.amdhsa_system_sgpr_workgroup_id_x 1
		.amdhsa_system_sgpr_workgroup_id_y 0
		.amdhsa_system_sgpr_workgroup_id_z 1
		.amdhsa_system_sgpr_workgroup_info 0
		.amdhsa_system_vgpr_workitem_id 0
		.amdhsa_next_free_vgpr 28
		.amdhsa_next_free_sgpr 32
		.amdhsa_reserve_vcc 1
		.amdhsa_float_round_mode_32 0
		.amdhsa_float_round_mode_16_64 0
		.amdhsa_float_denorm_mode_32 3
		.amdhsa_float_denorm_mode_16_64 3
		.amdhsa_fp16_overflow 0
		.amdhsa_workgroup_processor_mode 1
		.amdhsa_memory_ordered 1
		.amdhsa_forward_progress 1
		.amdhsa_inst_pref_size 10
		.amdhsa_round_robin_scheduling 0
		.amdhsa_exception_fp_ieee_invalid_op 0
		.amdhsa_exception_fp_denorm_src 0
		.amdhsa_exception_fp_ieee_div_zero 0
		.amdhsa_exception_fp_ieee_overflow 0
		.amdhsa_exception_fp_ieee_underflow 0
		.amdhsa_exception_fp_ieee_inexact 0
		.amdhsa_exception_int_div_zero 0
	.end_amdhsa_kernel
	.section	.text._ZL20rocblas_tpmvt_kernelILi512EPKPKfPKPfS4_EvbbiT0_llT1_lllT2_li,"axG",@progbits,_ZL20rocblas_tpmvt_kernelILi512EPKPKfPKPfS4_EvbbiT0_llT1_lllT2_li,comdat
.Lfunc_end13:
	.size	_ZL20rocblas_tpmvt_kernelILi512EPKPKfPKPfS4_EvbbiT0_llT1_lllT2_li, .Lfunc_end13-_ZL20rocblas_tpmvt_kernelILi512EPKPKfPKPfS4_EvbbiT0_llT1_lllT2_li
                                        ; -- End function
	.set _ZL20rocblas_tpmvt_kernelILi512EPKPKfPKPfS4_EvbbiT0_llT1_lllT2_li.num_vgpr, 28
	.set _ZL20rocblas_tpmvt_kernelILi512EPKPKfPKPfS4_EvbbiT0_llT1_lllT2_li.num_agpr, 0
	.set _ZL20rocblas_tpmvt_kernelILi512EPKPKfPKPfS4_EvbbiT0_llT1_lllT2_li.numbered_sgpr, 32
	.set _ZL20rocblas_tpmvt_kernelILi512EPKPKfPKPfS4_EvbbiT0_llT1_lllT2_li.num_named_barrier, 0
	.set _ZL20rocblas_tpmvt_kernelILi512EPKPKfPKPfS4_EvbbiT0_llT1_lllT2_li.private_seg_size, 0
	.set _ZL20rocblas_tpmvt_kernelILi512EPKPKfPKPfS4_EvbbiT0_llT1_lllT2_li.uses_vcc, 1
	.set _ZL20rocblas_tpmvt_kernelILi512EPKPKfPKPfS4_EvbbiT0_llT1_lllT2_li.uses_flat_scratch, 0
	.set _ZL20rocblas_tpmvt_kernelILi512EPKPKfPKPfS4_EvbbiT0_llT1_lllT2_li.has_dyn_sized_stack, 0
	.set _ZL20rocblas_tpmvt_kernelILi512EPKPKfPKPfS4_EvbbiT0_llT1_lllT2_li.has_recursion, 0
	.set _ZL20rocblas_tpmvt_kernelILi512EPKPKfPKPfS4_EvbbiT0_llT1_lllT2_li.has_indirect_call, 0
	.section	.AMDGPU.csdata,"",@progbits
; Kernel info:
; codeLenInByte = 1260
; TotalNumSgprs: 34
; NumVgprs: 28
; ScratchSize: 0
; MemoryBound: 0
; FloatMode: 240
; IeeeMode: 1
; LDSByteSize: 0 bytes/workgroup (compile time only)
; SGPRBlocks: 0
; VGPRBlocks: 3
; NumSGPRsForWavesPerEU: 34
; NumVGPRsForWavesPerEU: 28
; Occupancy: 16
; WaveLimiterHint : 1
; COMPUTE_PGM_RSRC2:SCRATCH_EN: 0
; COMPUTE_PGM_RSRC2:USER_SGPR: 2
; COMPUTE_PGM_RSRC2:TRAP_HANDLER: 0
; COMPUTE_PGM_RSRC2:TGID_X_EN: 1
; COMPUTE_PGM_RSRC2:TGID_Y_EN: 0
; COMPUTE_PGM_RSRC2:TGID_Z_EN: 1
; COMPUTE_PGM_RSRC2:TIDIG_COMP_CNT: 0
	.section	.text._ZL20rocblas_tpmvc_kernelILi512EPKPKfPKPfS4_EvbbiT0_llT1_lllT2_li,"axG",@progbits,_ZL20rocblas_tpmvc_kernelILi512EPKPKfPKPfS4_EvbbiT0_llT1_lllT2_li,comdat
	.globl	_ZL20rocblas_tpmvc_kernelILi512EPKPKfPKPfS4_EvbbiT0_llT1_lllT2_li ; -- Begin function _ZL20rocblas_tpmvc_kernelILi512EPKPKfPKPfS4_EvbbiT0_llT1_lllT2_li
	.p2align	8
	.type	_ZL20rocblas_tpmvc_kernelILi512EPKPKfPKPfS4_EvbbiT0_llT1_lllT2_li,@function
_ZL20rocblas_tpmvc_kernelILi512EPKPKfPKPfS4_EvbbiT0_llT1_lllT2_li: ; @_ZL20rocblas_tpmvc_kernelILi512EPKPKfPKPfS4_EvbbiT0_llT1_lllT2_li
; %bb.0:
	s_load_b32 s28, s[0:1], 0x50
	s_lshr_b32 s16, ttmp7, 16
	s_wait_kmcnt 0x0
	s_cmp_ge_u32 s16, s28
	s_cbranch_scc1 .LBB14_21
; %bb.1:
	s_clause 0x6
	s_load_b32 s2, s[0:1], 0x0
	s_load_b64 s[18:19], s[0:1], 0x0
	s_load_b32 s3, s[0:1], 0x64
	s_load_b128 s[4:7], s[0:1], 0x8
	s_load_b64 s[20:21], s[0:1], 0x30
	s_load_b128 s[8:11], s[0:1], 0x20
	s_load_b128 s[12:15], s[0:1], 0x40
	s_wait_kmcnt 0x0
	s_bitcmp1_b32 s2, 0
	s_cselect_b32 s2, -1, 0
	s_delay_alu instid0(SALU_CYCLE_1)
	s_xor_b32 s29, s2, -1
	s_bitcmp1_b32 s18, 8
	s_cselect_b32 s17, -1, 0
	s_and_b32 s2, s3, 0xffff
	s_ashr_i32 s3, s19, 31
	v_mad_co_u64_u32 v[0:1], null, ttmp9, s2, v[0:1]
	s_mov_b32 s2, s19
	s_lshl_b64 s[6:7], s[6:7], 2
	s_wait_alu 0xfffe
	s_lshl_b64 s[0:1], s[2:3], 2
	s_lshl_b64 s[10:11], s[10:11], 2
	s_wait_alu 0xfffe
	s_add_nc_u64 s[22:23], s[0:1], -4
	s_xor_b32 s18, s17, -1
	v_ashrrev_i32_e32 v1, 31, v0
	v_add_nc_u32_e32 v2, 1, v0
	v_add_co_u32 v3, vcc_lo, v0, -1
	v_mad_co_i64_i32 v[8:9], null, v0, s19, 0
	s_delay_alu instid0(VALU_DEP_4) | instskip(NEXT) | instid1(VALU_DEP_4)
	v_add_co_ci_u32_e64 v4, null, -1, v1, vcc_lo
	v_mad_co_u64_u32 v[12:13], null, v2, v0, 0
	s_delay_alu instid0(VALU_DEP_4) | instskip(SKIP_1) | instid1(VALU_DEP_4)
	v_mul_lo_u32 v5, v3, v1
	v_mad_co_u64_u32 v[14:15], null, v3, v0, 0
	v_mul_lo_u32 v20, v4, v0
	v_ashrrev_i32_e32 v3, 31, v2
	v_mul_lo_u32 v26, s21, v2
	v_mov_b32_e32 v4, v13
	v_mad_co_u64_u32 v[18:19], null, s20, v2, 0
	s_delay_alu instid0(VALU_DEP_4)
	v_mul_lo_u32 v13, s20, v3
	v_mul_lo_u32 v24, s23, v0
	v_add3_u32 v15, v15, v5, v20
	v_mad_co_u64_u32 v[20:21], null, v2, v1, v[4:5]
	v_mad_co_u64_u32 v[10:11], null, s22, v0, s[6:7]
	v_mul_lo_u32 v27, s22, v1
	s_delay_alu instid0(VALU_DEP_4)
	v_lshrrev_b64 v[14:15], 1, v[14:15]
	v_lshlrev_b64_e32 v[4:5], 2, v[0:1]
	v_add3_u32 v19, v19, v13, v26
	v_mov_b32_e32 v13, v20
	v_lshlrev_b64_e32 v[21:22], 2, v[2:3]
	v_mad_co_i64_i32 v[16:17], null, v2, v0, 0
	v_sub_co_u32 v8, vcc_lo, v8, v14
	v_mul_lo_u32 v23, s21, v0
	v_mad_co_u64_u32 v[6:7], null, s20, v0, 0
	v_mul_lo_u32 v25, s20, v1
	v_add3_u32 v11, v24, v11, v27
	s_wait_alu 0xfffd
	v_sub_co_ci_u32_e64 v9, null, v9, v15, vcc_lo
	v_add_co_u32 v1, vcc_lo, s12, v4
	s_wait_alu 0xfffd
	v_add_co_ci_u32_e64 v3, null, s13, v5, vcc_lo
	v_lshlrev_b64_e32 v[18:19], 2, v[18:19]
	v_add_co_u32 v20, vcc_lo, v10, v21
	s_wait_alu 0xfffd
	v_add_co_ci_u32_e64 v21, null, v11, v22, vcc_lo
	v_lshlrev_b64_e32 v[10:11], 2, v[14:15]
	v_lshrrev_b64 v[16:17], 1, v[16:17]
	v_lshrrev_b64 v[12:13], 1, v[12:13]
	v_add3_u32 v7, v7, v25, v23
	v_add_co_u32 v18, vcc_lo, v18, s10
	s_wait_alu 0xfffd
	v_add_co_ci_u32_e64 v19, null, s11, v19, vcc_lo
	v_sub_co_u32 v20, vcc_lo, v20, v10
	s_wait_alu 0xfffd
	v_sub_co_ci_u32_e64 v21, null, v21, v11, vcc_lo
	v_lshlrev_b64_e32 v[6:7], 2, v[6:7]
	v_lshlrev_b64_e32 v[8:9], 2, v[8:9]
	;; [unrolled: 1-line block ×4, first 2 shown]
	v_cmp_gt_i32_e64 s0, s19, v0
	v_cmp_lt_i32_e64 s1, 0, v0
	v_cmp_gt_i32_e64 s2, s19, v2
	v_cndmask_b32_e64 v22, 0, 1, s18
	s_mov_b32 s17, 0
	s_lshl_b64 s[12:13], s[20:21], 2
	s_branch .LBB14_5
.LBB14_2:                               ;   in Loop: Header=BB14_5 Depth=1
	s_wait_alu 0xfffe
	s_or_b32 exec_lo, exec_lo, s24
	s_wait_loadcnt_dscnt 0x0
	v_mov_b32_e32 v24, v23
.LBB14_3:                               ;   in Loop: Header=BB14_5 Depth=1
	s_mul_u64 s[20:21], s[14:15], s[16:17]
	s_wait_alu 0xfffe
	s_lshl_b64 s[20:21], s[20:21], 2
	s_wait_alu 0xfffe
	v_add_co_u32 v14, vcc_lo, v1, s20
	s_wait_alu 0xfffd
	v_add_co_ci_u32_e64 v15, null, s21, v3, vcc_lo
	global_store_b32 v[14:15], v24, off
.LBB14_4:                               ;   in Loop: Header=BB14_5 Depth=1
	s_or_b32 exec_lo, exec_lo, s30
	s_add_co_i32 s16, s16, 0x10000
	s_delay_alu instid0(SALU_CYCLE_1)
	s_cmp_lt_u32 s16, s28
	s_cbranch_scc0 .LBB14_21
.LBB14_5:                               ; =>This Loop Header: Depth=1
                                        ;     Child Loop BB14_11 Depth 2
                                        ;     Child Loop BB14_19 Depth 2
	s_and_saveexec_b32 s30, s0
	s_cbranch_execz .LBB14_4
; %bb.6:                                ;   in Loop: Header=BB14_5 Depth=1
	s_lshl_b64 s[22:23], s[16:17], 3
	v_cmp_ne_u32_e64 s3, 1, v22
	s_wait_alu 0xfffe
	s_add_nc_u64 s[20:21], s[8:9], s[22:23]
	s_add_nc_u64 s[22:23], s[4:5], s[22:23]
	s_load_b64 s[24:25], s[20:21], 0x0
	s_load_b64 s[26:27], s[22:23], 0x0
	s_mov_b32 s31, -1
                                        ; implicit-def: $vgpr24
	s_wait_kmcnt 0x0
	s_add_nc_u64 s[20:21], s[24:25], s[10:11]
	s_add_nc_u64 s[22:23], s[26:27], s[6:7]
	s_wait_alu 0xfffe
	v_add_co_u32 v14, vcc_lo, s20, v6
	s_wait_alu 0xfffd
	v_add_co_ci_u32_e64 v15, null, s21, v7, vcc_lo
	s_and_b32 vcc_lo, exec_lo, s29
	s_wait_loadcnt_dscnt 0x0
	flat_load_b32 v23, v[14:15]
	s_wait_alu 0xfffe
	s_cbranch_vccz .LBB14_14
; %bb.7:                                ;   in Loop: Header=BB14_5 Depth=1
	s_wait_loadcnt_dscnt 0x0
	v_mov_b32_e32 v24, v23
	s_and_b32 vcc_lo, exec_lo, s3
	s_wait_alu 0xfffe
	s_cbranch_vccnz .LBB14_9
; %bb.8:                                ;   in Loop: Header=BB14_5 Depth=1
	v_add_co_u32 v14, vcc_lo, s22, v8
	s_wait_alu 0xfffd
	v_add_co_ci_u32_e64 v15, null, s23, v9, vcc_lo
	flat_load_b32 v14, v[14:15]
	s_wait_loadcnt_dscnt 0x0
	v_mul_f32_e32 v24, v23, v14
.LBB14_9:                               ;   in Loop: Header=BB14_5 Depth=1
	s_and_saveexec_b32 s31, s2
	s_cbranch_execz .LBB14_13
; %bb.10:                               ;   in Loop: Header=BB14_5 Depth=1
	v_add_co_u32 v14, vcc_lo, s24, v18
	s_wait_alu 0xfffd
	v_add_co_ci_u32_e64 v15, null, s25, v19, vcc_lo
	v_add_co_u32 v16, vcc_lo, s26, v20
	s_wait_alu 0xfffd
	v_add_co_ci_u32_e64 v17, null, s27, v21, vcc_lo
	v_mov_b32_e32 v25, v2
	s_mov_b32 s24, 0
.LBB14_11:                              ;   Parent Loop BB14_5 Depth=1
                                        ; =>  This Inner Loop Header: Depth=2
	flat_load_b32 v26, v[16:17]
	flat_load_b32 v27, v[14:15]
	v_add_nc_u32_e32 v25, 1, v25
	v_add_co_u32 v14, vcc_lo, v14, s12
	s_wait_alu 0xfffd
	v_add_co_ci_u32_e64 v15, null, s13, v15, vcc_lo
	v_add_co_u32 v16, vcc_lo, v16, 4
	s_wait_alu 0xfffd
	v_add_co_ci_u32_e64 v17, null, 0, v17, vcc_lo
	s_wait_loadcnt_dscnt 0x0
	v_fmac_f32_e32 v24, v26, v27
	v_cmp_le_i32_e64 s3, s19, v25
	s_wait_alu 0xfffe
	s_or_b32 s24, s3, s24
	s_wait_alu 0xfffe
	s_and_not1_b32 exec_lo, exec_lo, s24
	s_cbranch_execnz .LBB14_11
; %bb.12:                               ;   in Loop: Header=BB14_5 Depth=1
	s_or_b32 exec_lo, exec_lo, s24
.LBB14_13:                              ;   in Loop: Header=BB14_5 Depth=1
	s_delay_alu instid0(SALU_CYCLE_1)
	s_or_b32 exec_lo, exec_lo, s31
	s_mov_b32 s31, 0
.LBB14_14:                              ;   in Loop: Header=BB14_5 Depth=1
	s_delay_alu instid0(SALU_CYCLE_1)
	s_and_b32 vcc_lo, exec_lo, s31
	s_wait_alu 0xfffe
	s_cbranch_vccz .LBB14_3
; %bb.15:                               ;   in Loop: Header=BB14_5 Depth=1
	s_and_not1_b32 vcc_lo, exec_lo, s18
	s_wait_alu 0xfffe
	s_cbranch_vccnz .LBB14_17
; %bb.16:                               ;   in Loop: Header=BB14_5 Depth=1
	v_add_co_u32 v14, vcc_lo, s22, v10
	s_wait_alu 0xfffd
	v_add_co_ci_u32_e64 v15, null, s23, v11, vcc_lo
	s_delay_alu instid0(VALU_DEP_2) | instskip(SKIP_1) | instid1(VALU_DEP_2)
	v_add_co_u32 v14, vcc_lo, v14, v4
	s_wait_alu 0xfffd
	v_add_co_ci_u32_e64 v15, null, v15, v5, vcc_lo
	flat_load_b32 v14, v[14:15]
	s_wait_loadcnt_dscnt 0x0
	v_mul_f32_e32 v23, v23, v14
.LBB14_17:                              ;   in Loop: Header=BB14_5 Depth=1
	s_and_saveexec_b32 s24, s1
	s_cbranch_execz .LBB14_2
; %bb.18:                               ;   in Loop: Header=BB14_5 Depth=1
	v_add_co_u32 v14, vcc_lo, s22, v12
	s_wait_alu 0xfffd
	v_add_co_ci_u32_e64 v15, null, s23, v13, vcc_lo
	v_mov_b32_e32 v16, v0
	s_mov_b32 s22, 0
.LBB14_19:                              ;   Parent Loop BB14_5 Depth=1
                                        ; =>  This Inner Loop Header: Depth=2
	v_dual_mov_b32 v25, s21 :: v_dual_mov_b32 v24, s20
	s_delay_alu instid0(VALU_DEP_2)
	v_add_nc_u32_e32 v16, -1, v16
	s_add_nc_u64 s[20:21], s[20:21], s[12:13]
	flat_load_b32 v17, v[14:15]
	flat_load_b32 v24, v[24:25]
	v_add_co_u32 v14, vcc_lo, v14, 4
	v_cmp_eq_u32_e64 s3, 0, v16
	s_wait_alu 0xfffd
	v_add_co_ci_u32_e64 v15, null, 0, v15, vcc_lo
	s_wait_alu 0xfffe
	s_delay_alu instid0(VALU_DEP_2)
	s_or_b32 s22, s3, s22
	s_wait_loadcnt_dscnt 0x0
	v_fmac_f32_e32 v23, v17, v24
	s_wait_alu 0xfffe
	s_and_not1_b32 exec_lo, exec_lo, s22
	s_cbranch_execnz .LBB14_19
; %bb.20:                               ;   in Loop: Header=BB14_5 Depth=1
	s_or_b32 exec_lo, exec_lo, s22
	s_branch .LBB14_2
.LBB14_21:
	s_endpgm
	.section	.rodata,"a",@progbits
	.p2align	6, 0x0
	.amdhsa_kernel _ZL20rocblas_tpmvc_kernelILi512EPKPKfPKPfS4_EvbbiT0_llT1_lllT2_li
		.amdhsa_group_segment_fixed_size 0
		.amdhsa_private_segment_fixed_size 0
		.amdhsa_kernarg_size 344
		.amdhsa_user_sgpr_count 2
		.amdhsa_user_sgpr_dispatch_ptr 0
		.amdhsa_user_sgpr_queue_ptr 0
		.amdhsa_user_sgpr_kernarg_segment_ptr 1
		.amdhsa_user_sgpr_dispatch_id 0
		.amdhsa_user_sgpr_private_segment_size 0
		.amdhsa_wavefront_size32 1
		.amdhsa_uses_dynamic_stack 0
		.amdhsa_enable_private_segment 0
		.amdhsa_system_sgpr_workgroup_id_x 1
		.amdhsa_system_sgpr_workgroup_id_y 0
		.amdhsa_system_sgpr_workgroup_id_z 1
		.amdhsa_system_sgpr_workgroup_info 0
		.amdhsa_system_vgpr_workitem_id 0
		.amdhsa_next_free_vgpr 28
		.amdhsa_next_free_sgpr 32
		.amdhsa_reserve_vcc 1
		.amdhsa_float_round_mode_32 0
		.amdhsa_float_round_mode_16_64 0
		.amdhsa_float_denorm_mode_32 3
		.amdhsa_float_denorm_mode_16_64 3
		.amdhsa_fp16_overflow 0
		.amdhsa_workgroup_processor_mode 1
		.amdhsa_memory_ordered 1
		.amdhsa_forward_progress 1
		.amdhsa_inst_pref_size 10
		.amdhsa_round_robin_scheduling 0
		.amdhsa_exception_fp_ieee_invalid_op 0
		.amdhsa_exception_fp_denorm_src 0
		.amdhsa_exception_fp_ieee_div_zero 0
		.amdhsa_exception_fp_ieee_overflow 0
		.amdhsa_exception_fp_ieee_underflow 0
		.amdhsa_exception_fp_ieee_inexact 0
		.amdhsa_exception_int_div_zero 0
	.end_amdhsa_kernel
	.section	.text._ZL20rocblas_tpmvc_kernelILi512EPKPKfPKPfS4_EvbbiT0_llT1_lllT2_li,"axG",@progbits,_ZL20rocblas_tpmvc_kernelILi512EPKPKfPKPfS4_EvbbiT0_llT1_lllT2_li,comdat
.Lfunc_end14:
	.size	_ZL20rocblas_tpmvc_kernelILi512EPKPKfPKPfS4_EvbbiT0_llT1_lllT2_li, .Lfunc_end14-_ZL20rocblas_tpmvc_kernelILi512EPKPKfPKPfS4_EvbbiT0_llT1_lllT2_li
                                        ; -- End function
	.set _ZL20rocblas_tpmvc_kernelILi512EPKPKfPKPfS4_EvbbiT0_llT1_lllT2_li.num_vgpr, 28
	.set _ZL20rocblas_tpmvc_kernelILi512EPKPKfPKPfS4_EvbbiT0_llT1_lllT2_li.num_agpr, 0
	.set _ZL20rocblas_tpmvc_kernelILi512EPKPKfPKPfS4_EvbbiT0_llT1_lllT2_li.numbered_sgpr, 32
	.set _ZL20rocblas_tpmvc_kernelILi512EPKPKfPKPfS4_EvbbiT0_llT1_lllT2_li.num_named_barrier, 0
	.set _ZL20rocblas_tpmvc_kernelILi512EPKPKfPKPfS4_EvbbiT0_llT1_lllT2_li.private_seg_size, 0
	.set _ZL20rocblas_tpmvc_kernelILi512EPKPKfPKPfS4_EvbbiT0_llT1_lllT2_li.uses_vcc, 1
	.set _ZL20rocblas_tpmvc_kernelILi512EPKPKfPKPfS4_EvbbiT0_llT1_lllT2_li.uses_flat_scratch, 0
	.set _ZL20rocblas_tpmvc_kernelILi512EPKPKfPKPfS4_EvbbiT0_llT1_lllT2_li.has_dyn_sized_stack, 0
	.set _ZL20rocblas_tpmvc_kernelILi512EPKPKfPKPfS4_EvbbiT0_llT1_lllT2_li.has_recursion, 0
	.set _ZL20rocblas_tpmvc_kernelILi512EPKPKfPKPfS4_EvbbiT0_llT1_lllT2_li.has_indirect_call, 0
	.section	.AMDGPU.csdata,"",@progbits
; Kernel info:
; codeLenInByte = 1260
; TotalNumSgprs: 34
; NumVgprs: 28
; ScratchSize: 0
; MemoryBound: 0
; FloatMode: 240
; IeeeMode: 1
; LDSByteSize: 0 bytes/workgroup (compile time only)
; SGPRBlocks: 0
; VGPRBlocks: 3
; NumSGPRsForWavesPerEU: 34
; NumVGPRsForWavesPerEU: 28
; Occupancy: 16
; WaveLimiterHint : 1
; COMPUTE_PGM_RSRC2:SCRATCH_EN: 0
; COMPUTE_PGM_RSRC2:USER_SGPR: 2
; COMPUTE_PGM_RSRC2:TRAP_HANDLER: 0
; COMPUTE_PGM_RSRC2:TGID_X_EN: 1
; COMPUTE_PGM_RSRC2:TGID_Y_EN: 0
; COMPUTE_PGM_RSRC2:TGID_Z_EN: 1
; COMPUTE_PGM_RSRC2:TIDIG_COMP_CNT: 0
	.section	.text._ZL20rocblas_tpmvn_kernelILi512EPKPKdPKPdS4_EvbbiT0_llT1_lllT2_li,"axG",@progbits,_ZL20rocblas_tpmvn_kernelILi512EPKPKdPKPdS4_EvbbiT0_llT1_lllT2_li,comdat
	.globl	_ZL20rocblas_tpmvn_kernelILi512EPKPKdPKPdS4_EvbbiT0_llT1_lllT2_li ; -- Begin function _ZL20rocblas_tpmvn_kernelILi512EPKPKdPKPdS4_EvbbiT0_llT1_lllT2_li
	.p2align	8
	.type	_ZL20rocblas_tpmvn_kernelILi512EPKPKdPKPdS4_EvbbiT0_llT1_lllT2_li,@function
_ZL20rocblas_tpmvn_kernelILi512EPKPKdPKPdS4_EvbbiT0_llT1_lllT2_li: ; @_ZL20rocblas_tpmvn_kernelILi512EPKPKdPKPdS4_EvbbiT0_llT1_lllT2_li
; %bb.0:
	s_load_b32 s33, s[0:1], 0x50
	s_lshr_b32 s16, ttmp7, 16
	s_wait_kmcnt 0x0
	s_cmp_ge_u32 s16, s33
	s_cbranch_scc1 .LBB15_21
; %bb.1:
	s_clause 0x6
	s_load_b32 s2, s[0:1], 0x0
	s_load_b64 s[18:19], s[0:1], 0x0
	s_load_b32 s3, s[0:1], 0x64
	s_load_b128 s[4:7], s[0:1], 0x20
	s_load_b64 s[22:23], s[0:1], 0x30
	s_load_b128 s[8:11], s[0:1], 0x8
	s_load_b128 s[12:15], s[0:1], 0x40
	s_wait_kmcnt 0x0
	s_bitcmp1_b32 s2, 0
	s_mov_b32 s20, s19
	s_cselect_b32 s2, -1, 0
	s_delay_alu instid0(SALU_CYCLE_1)
	s_xor_b32 s36, s2, -1
	s_bitcmp1_b32 s18, 8
	s_cselect_b32 s17, -1, 0
	s_and_b32 s2, s3, 0xffff
	s_lshl_b64 s[6:7], s[6:7], 3
	v_mad_co_u64_u32 v[0:1], null, ttmp9, s2, v[0:1]
	s_xor_b32 s18, s17, -1
	s_ashr_i32 s21, s19, 31
	v_cndmask_b32_e64 v25, 0, 1, s18
	s_mov_b32 s17, 0
	s_lshl_b64 s[10:11], s[10:11], 3
	v_ashrrev_i32_e32 v1, 31, v0
	v_add_co_u32 v3, vcc_lo, v0, -1
	v_add_nc_u32_e32 v2, 1, v0
	v_mul_lo_u32 v18, s23, v0
	s_delay_alu instid0(VALU_DEP_4) | instskip(NEXT) | instid1(VALU_DEP_4)
	v_add_co_ci_u32_e64 v5, null, -1, v1, vcc_lo
	v_mul_lo_u32 v20, v3, v1
	v_mad_co_u64_u32 v[10:11], null, v3, v0, 0
	s_delay_alu instid0(VALU_DEP_3)
	v_mul_lo_u32 v5, v5, v0
	v_ashrrev_i32_e32 v3, 31, v2
	v_mad_co_u64_u32 v[8:9], null, s22, v0, 0
	v_mul_lo_u32 v19, s22, v1
	v_mad_co_i64_i32 v[14:15], null, v2, v0, 0
	v_mul_lo_u32 v21, s23, v2
	v_mad_co_u64_u32 v[16:17], null, s22, v2, 0
	v_mul_lo_u32 v22, s22, v3
	v_add3_u32 v11, v11, v20, v5
	v_mad_co_i64_i32 v[12:13], null, v0, s19, 0
	v_lshlrev_b64_e32 v[6:7], 3, v[0:1]
	v_add3_u32 v9, v9, v19, v18
	v_lshrrev_b64 v[14:15], 1, v[14:15]
	v_lshrrev_b64 v[18:19], 1, v[10:11]
	v_add3_u32 v17, v17, v22, v21
	v_add_nc_u32_e32 v4, 2, v0
	v_add_co_u32 v1, vcc_lo, s12, v6
	s_wait_alu 0xfffd
	v_add_co_ci_u32_e64 v22, null, s13, v7, vcc_lo
	v_lshlrev_b64_e32 v[10:11], 3, v[14:15]
	v_lshlrev_b64_e32 v[14:15], 3, v[16:17]
	v_sub_co_u32 v12, vcc_lo, v12, v18
	s_wait_alu 0xfffd
	v_sub_co_ci_u32_e64 v13, null, v13, v19, vcc_lo
	v_lshlrev_b64_e32 v[8:9], 3, v[8:9]
	s_delay_alu instid0(VALU_DEP_4) | instskip(NEXT) | instid1(VALU_DEP_3)
	v_add_co_u32 v23, vcc_lo, v14, s6
	v_lshlrev_b64_e32 v[12:13], 3, v[12:13]
	v_cmp_gt_i32_e64 s0, s19, v0
	v_cmp_lt_i32_e64 s1, 0, v0
	v_cmp_gt_i32_e64 s2, s19, v2
	v_ashrrev_i32_e32 v5, 31, v4
	s_wait_alu 0xfffd
	v_add_co_ci_u32_e64 v24, null, s7, v15, vcc_lo
	s_lshl_b64 s[12:13], s[22:23], 3
	s_branch .LBB15_5
.LBB15_2:                               ;   in Loop: Header=BB15_5 Depth=1
	s_wait_alu 0xfffe
	s_or_b32 exec_lo, exec_lo, s26
	s_wait_loadcnt_dscnt 0x0
	s_delay_alu instid0(VALU_DEP_1)
	v_dual_mov_b32 v17, v15 :: v_dual_mov_b32 v16, v14
.LBB15_3:                               ;   in Loop: Header=BB15_5 Depth=1
	s_mul_u64 s[22:23], s[14:15], s[16:17]
	s_wait_alu 0xfffe
	s_lshl_b64 s[22:23], s[22:23], 3
	s_wait_loadcnt_dscnt 0x0
	s_wait_alu 0xfffe
	v_add_co_u32 v14, vcc_lo, v1, s22
	s_wait_alu 0xfffd
	v_add_co_ci_u32_e64 v15, null, s23, v22, vcc_lo
	global_store_b64 v[14:15], v[16:17], off
.LBB15_4:                               ;   in Loop: Header=BB15_5 Depth=1
	s_or_b32 exec_lo, exec_lo, s37
	s_add_co_i32 s16, s16, 0x10000
	s_delay_alu instid0(SALU_CYCLE_1)
	s_cmp_lt_u32 s16, s33
	s_cbranch_scc0 .LBB15_21
.LBB15_5:                               ; =>This Loop Header: Depth=1
                                        ;     Child Loop BB15_11 Depth 2
                                        ;     Child Loop BB15_19 Depth 2
	s_and_saveexec_b32 s37, s0
	s_cbranch_execz .LBB15_4
; %bb.6:                                ;   in Loop: Header=BB15_5 Depth=1
	s_lshl_b64 s[24:25], s[16:17], 3
	v_cmp_ne_u32_e64 s3, 1, v25
	s_wait_alu 0xfffe
	s_add_nc_u64 s[22:23], s[4:5], s[24:25]
	s_add_nc_u64 s[24:25], s[8:9], s[24:25]
	s_load_b64 s[22:23], s[22:23], 0x0
	s_load_b64 s[24:25], s[24:25], 0x0
	s_mov_b32 s28, -1
                                        ; implicit-def: $vgpr16_vgpr17
	s_wait_kmcnt 0x0
	s_add_nc_u64 s[26:27], s[22:23], s[6:7]
	s_add_nc_u64 s[24:25], s[24:25], s[10:11]
	s_wait_alu 0xfffe
	v_add_co_u32 v14, vcc_lo, s26, v8
	s_wait_alu 0xfffd
	v_add_co_ci_u32_e64 v15, null, s27, v9, vcc_lo
	s_and_b32 vcc_lo, exec_lo, s36
	flat_load_b64 v[14:15], v[14:15]
	s_wait_alu 0xfffe
	s_cbranch_vccz .LBB15_14
; %bb.7:                                ;   in Loop: Header=BB15_5 Depth=1
	s_wait_loadcnt_dscnt 0x0
	v_dual_mov_b32 v17, v15 :: v_dual_mov_b32 v16, v14
	s_and_b32 vcc_lo, exec_lo, s3
	s_wait_alu 0xfffe
	s_cbranch_vccnz .LBB15_9
; %bb.8:                                ;   in Loop: Header=BB15_5 Depth=1
	v_add_co_u32 v16, vcc_lo, s24, v12
	s_wait_alu 0xfffd
	v_add_co_ci_u32_e64 v17, null, s25, v13, vcc_lo
	flat_load_b64 v[16:17], v[16:17]
	s_wait_loadcnt_dscnt 0x0
	v_mul_f64_e32 v[16:17], v[14:15], v[16:17]
.LBB15_9:                               ;   in Loop: Header=BB15_5 Depth=1
	s_and_saveexec_b32 s3, s1
	s_cbranch_execz .LBB15_13
; %bb.10:                               ;   in Loop: Header=BB15_5 Depth=1
	v_mov_b32_e32 v18, v0
	s_mov_b64 s[28:29], 0
	s_mov_b32 s38, 0
	s_mov_b64 s[34:35], 0
	s_mov_b64 s[30:31], 0
.LBB15_11:                              ;   Parent Loop BB15_5 Depth=1
                                        ; =>  This Inner Loop Header: Depth=2
	s_wait_alu 0xfffe
	v_add_co_u32 v19, s39, s30, v18
	s_wait_alu 0xf1ff
	v_add_co_ci_u32_e64 v20, null, s31, 0, s39
	s_lshr_b64 s[40:41], s[28:29], 1
	v_dual_mov_b32 v26, s26 :: v_dual_mov_b32 v27, s27
	s_wait_alu 0xfffe
	v_sub_co_u32 v19, vcc_lo, v19, s40
	s_wait_alu 0xfffd
	v_subrev_co_ci_u32_e64 v20, null, s41, v20, vcc_lo
	v_add_nc_u32_e32 v18, -1, v18
	s_add_nc_u64 s[40:41], s[34:35], 2
	s_add_nc_u64 s[26:27], s[26:27], s[12:13]
	s_delay_alu instid0(VALU_DEP_2) | instskip(SKIP_4) | instid1(VALU_DEP_1)
	v_lshlrev_b64_e32 v[19:20], 3, v[19:20]
	s_add_nc_u64 s[30:31], s[30:31], s[20:21]
	s_add_nc_u64 s[28:29], s[28:29], s[34:35]
	s_wait_alu 0xfffe
	s_mov_b64 s[34:35], s[40:41]
	v_add_co_u32 v19, vcc_lo, s24, v19
	s_wait_alu 0xfffd
	v_add_co_ci_u32_e64 v20, null, s25, v20, vcc_lo
	flat_load_b64 v[26:27], v[26:27]
	flat_load_b64 v[19:20], v[19:20]
	v_cmp_eq_u32_e32 vcc_lo, 0, v18
	s_or_b32 s38, vcc_lo, s38
	s_wait_loadcnt_dscnt 0x0
	v_fma_f64 v[16:17], v[19:20], v[26:27], v[16:17]
	s_wait_alu 0xfffe
	s_and_not1_b32 exec_lo, exec_lo, s38
	s_cbranch_execnz .LBB15_11
; %bb.12:                               ;   in Loop: Header=BB15_5 Depth=1
	s_or_b32 exec_lo, exec_lo, s38
.LBB15_13:                              ;   in Loop: Header=BB15_5 Depth=1
	s_wait_alu 0xfffe
	s_or_b32 exec_lo, exec_lo, s3
	s_mov_b32 s28, 0
.LBB15_14:                              ;   in Loop: Header=BB15_5 Depth=1
	s_delay_alu instid0(SALU_CYCLE_1)
	s_and_b32 vcc_lo, exec_lo, s28
	s_wait_alu 0xfffe
	s_cbranch_vccz .LBB15_3
; %bb.15:                               ;   in Loop: Header=BB15_5 Depth=1
	s_and_not1_b32 vcc_lo, exec_lo, s18
	s_wait_alu 0xfffe
	s_cbranch_vccnz .LBB15_17
; %bb.16:                               ;   in Loop: Header=BB15_5 Depth=1
	v_add_co_u32 v16, vcc_lo, s24, v10
	s_wait_alu 0xfffd
	v_add_co_ci_u32_e64 v17, null, s25, v11, vcc_lo
	s_delay_alu instid0(VALU_DEP_2) | instskip(SKIP_1) | instid1(VALU_DEP_2)
	v_add_co_u32 v16, vcc_lo, v16, v6
	s_wait_alu 0xfffd
	v_add_co_ci_u32_e64 v17, null, v17, v7, vcc_lo
	flat_load_b64 v[16:17], v[16:17]
	s_wait_loadcnt_dscnt 0x0
	v_mul_f64_e32 v[14:15], v[14:15], v[16:17]
.LBB15_17:                              ;   in Loop: Header=BB15_5 Depth=1
	s_and_saveexec_b32 s26, s2
	s_cbranch_execz .LBB15_2
; %bb.18:                               ;   in Loop: Header=BB15_5 Depth=1
	v_add_co_u32 v26, vcc_lo, s24, v6
	s_wait_alu 0xfffd
	v_add_co_ci_u32_e64 v27, null, s25, v7, vcc_lo
	v_add_co_u32 v16, vcc_lo, s22, v23
	s_wait_alu 0xfffd
	v_add_co_ci_u32_e64 v17, null, s23, v24, vcc_lo
	v_dual_mov_b32 v21, v3 :: v_dual_mov_b32 v20, v2
	v_dual_mov_b32 v19, v5 :: v_dual_mov_b32 v18, v4
	s_mov_b32 s22, 0
.LBB15_19:                              ;   Parent Loop BB15_5 Depth=1
                                        ; =>  This Inner Loop Header: Depth=2
	s_delay_alu instid0(VALU_DEP_1) | instskip(NEXT) | instid1(VALU_DEP_2)
	v_mul_lo_u32 v30, v19, v20
	v_mul_lo_u32 v31, v18, v21
	v_mad_co_u64_u32 v[28:29], null, v18, v20, 0
	s_delay_alu instid0(VALU_DEP_1) | instskip(NEXT) | instid1(VALU_DEP_1)
	v_add3_u32 v29, v29, v31, v30
	v_lshlrev_b64_e32 v[28:29], 2, v[28:29]
	s_delay_alu instid0(VALU_DEP_1) | instskip(NEXT) | instid1(VALU_DEP_1)
	v_and_b32_e32 v28, -8, v28
	v_add_co_u32 v28, vcc_lo, v26, v28
	s_wait_alu 0xfffd
	s_delay_alu instid0(VALU_DEP_3)
	v_add_co_ci_u32_e64 v29, null, v27, v29, vcc_lo
	flat_load_b64 v[30:31], v[16:17]
	flat_load_b64 v[28:29], v[28:29]
	v_add_co_u32 v20, vcc_lo, v20, 1
	s_wait_alu 0xfffd
	v_add_co_ci_u32_e64 v21, null, 0, v21, vcc_lo
	v_add_co_u32 v18, vcc_lo, v18, 1
	s_wait_alu 0xfffd
	v_add_co_ci_u32_e64 v19, null, 0, v19, vcc_lo
	v_add_co_u32 v16, vcc_lo, v16, s12
	v_cmp_le_i32_e64 s3, s19, v20
	s_wait_alu 0xfffd
	v_add_co_ci_u32_e64 v17, null, s13, v17, vcc_lo
	s_wait_alu 0xfffe
	s_delay_alu instid0(VALU_DEP_2)
	s_or_b32 s22, s3, s22
	s_wait_loadcnt_dscnt 0x0
	v_fma_f64 v[14:15], v[28:29], v[30:31], v[14:15]
	s_wait_alu 0xfffe
	s_and_not1_b32 exec_lo, exec_lo, s22
	s_cbranch_execnz .LBB15_19
; %bb.20:                               ;   in Loop: Header=BB15_5 Depth=1
	s_or_b32 exec_lo, exec_lo, s22
	s_branch .LBB15_2
.LBB15_21:
	s_endpgm
	.section	.rodata,"a",@progbits
	.p2align	6, 0x0
	.amdhsa_kernel _ZL20rocblas_tpmvn_kernelILi512EPKPKdPKPdS4_EvbbiT0_llT1_lllT2_li
		.amdhsa_group_segment_fixed_size 0
		.amdhsa_private_segment_fixed_size 0
		.amdhsa_kernarg_size 344
		.amdhsa_user_sgpr_count 2
		.amdhsa_user_sgpr_dispatch_ptr 0
		.amdhsa_user_sgpr_queue_ptr 0
		.amdhsa_user_sgpr_kernarg_segment_ptr 1
		.amdhsa_user_sgpr_dispatch_id 0
		.amdhsa_user_sgpr_private_segment_size 0
		.amdhsa_wavefront_size32 1
		.amdhsa_uses_dynamic_stack 0
		.amdhsa_enable_private_segment 0
		.amdhsa_system_sgpr_workgroup_id_x 1
		.amdhsa_system_sgpr_workgroup_id_y 0
		.amdhsa_system_sgpr_workgroup_id_z 1
		.amdhsa_system_sgpr_workgroup_info 0
		.amdhsa_system_vgpr_workitem_id 0
		.amdhsa_next_free_vgpr 32
		.amdhsa_next_free_sgpr 42
		.amdhsa_reserve_vcc 1
		.amdhsa_float_round_mode_32 0
		.amdhsa_float_round_mode_16_64 0
		.amdhsa_float_denorm_mode_32 3
		.amdhsa_float_denorm_mode_16_64 3
		.amdhsa_fp16_overflow 0
		.amdhsa_workgroup_processor_mode 1
		.amdhsa_memory_ordered 1
		.amdhsa_forward_progress 1
		.amdhsa_inst_pref_size 11
		.amdhsa_round_robin_scheduling 0
		.amdhsa_exception_fp_ieee_invalid_op 0
		.amdhsa_exception_fp_denorm_src 0
		.amdhsa_exception_fp_ieee_div_zero 0
		.amdhsa_exception_fp_ieee_overflow 0
		.amdhsa_exception_fp_ieee_underflow 0
		.amdhsa_exception_fp_ieee_inexact 0
		.amdhsa_exception_int_div_zero 0
	.end_amdhsa_kernel
	.section	.text._ZL20rocblas_tpmvn_kernelILi512EPKPKdPKPdS4_EvbbiT0_llT1_lllT2_li,"axG",@progbits,_ZL20rocblas_tpmvn_kernelILi512EPKPKdPKPdS4_EvbbiT0_llT1_lllT2_li,comdat
.Lfunc_end15:
	.size	_ZL20rocblas_tpmvn_kernelILi512EPKPKdPKPdS4_EvbbiT0_llT1_lllT2_li, .Lfunc_end15-_ZL20rocblas_tpmvn_kernelILi512EPKPKdPKPdS4_EvbbiT0_llT1_lllT2_li
                                        ; -- End function
	.set _ZL20rocblas_tpmvn_kernelILi512EPKPKdPKPdS4_EvbbiT0_llT1_lllT2_li.num_vgpr, 32
	.set _ZL20rocblas_tpmvn_kernelILi512EPKPKdPKPdS4_EvbbiT0_llT1_lllT2_li.num_agpr, 0
	.set _ZL20rocblas_tpmvn_kernelILi512EPKPKdPKPdS4_EvbbiT0_llT1_lllT2_li.numbered_sgpr, 42
	.set _ZL20rocblas_tpmvn_kernelILi512EPKPKdPKPdS4_EvbbiT0_llT1_lllT2_li.num_named_barrier, 0
	.set _ZL20rocblas_tpmvn_kernelILi512EPKPKdPKPdS4_EvbbiT0_llT1_lllT2_li.private_seg_size, 0
	.set _ZL20rocblas_tpmvn_kernelILi512EPKPKdPKPdS4_EvbbiT0_llT1_lllT2_li.uses_vcc, 1
	.set _ZL20rocblas_tpmvn_kernelILi512EPKPKdPKPdS4_EvbbiT0_llT1_lllT2_li.uses_flat_scratch, 0
	.set _ZL20rocblas_tpmvn_kernelILi512EPKPKdPKPdS4_EvbbiT0_llT1_lllT2_li.has_dyn_sized_stack, 0
	.set _ZL20rocblas_tpmvn_kernelILi512EPKPKdPKPdS4_EvbbiT0_llT1_lllT2_li.has_recursion, 0
	.set _ZL20rocblas_tpmvn_kernelILi512EPKPKdPKPdS4_EvbbiT0_llT1_lllT2_li.has_indirect_call, 0
	.section	.AMDGPU.csdata,"",@progbits
; Kernel info:
; codeLenInByte = 1316
; TotalNumSgprs: 44
; NumVgprs: 32
; ScratchSize: 0
; MemoryBound: 0
; FloatMode: 240
; IeeeMode: 1
; LDSByteSize: 0 bytes/workgroup (compile time only)
; SGPRBlocks: 0
; VGPRBlocks: 3
; NumSGPRsForWavesPerEU: 44
; NumVGPRsForWavesPerEU: 32
; Occupancy: 16
; WaveLimiterHint : 1
; COMPUTE_PGM_RSRC2:SCRATCH_EN: 0
; COMPUTE_PGM_RSRC2:USER_SGPR: 2
; COMPUTE_PGM_RSRC2:TRAP_HANDLER: 0
; COMPUTE_PGM_RSRC2:TGID_X_EN: 1
; COMPUTE_PGM_RSRC2:TGID_Y_EN: 0
; COMPUTE_PGM_RSRC2:TGID_Z_EN: 1
; COMPUTE_PGM_RSRC2:TIDIG_COMP_CNT: 0
	.section	.text._ZL20rocblas_tpmvt_kernelILi512EPKPKdPKPdS4_EvbbiT0_llT1_lllT2_li,"axG",@progbits,_ZL20rocblas_tpmvt_kernelILi512EPKPKdPKPdS4_EvbbiT0_llT1_lllT2_li,comdat
	.globl	_ZL20rocblas_tpmvt_kernelILi512EPKPKdPKPdS4_EvbbiT0_llT1_lllT2_li ; -- Begin function _ZL20rocblas_tpmvt_kernelILi512EPKPKdPKPdS4_EvbbiT0_llT1_lllT2_li
	.p2align	8
	.type	_ZL20rocblas_tpmvt_kernelILi512EPKPKdPKPdS4_EvbbiT0_llT1_lllT2_li,@function
_ZL20rocblas_tpmvt_kernelILi512EPKPKdPKPdS4_EvbbiT0_llT1_lllT2_li: ; @_ZL20rocblas_tpmvt_kernelILi512EPKPKdPKPdS4_EvbbiT0_llT1_lllT2_li
; %bb.0:
	s_load_b32 s28, s[0:1], 0x50
	s_lshr_b32 s16, ttmp7, 16
	s_wait_kmcnt 0x0
	s_cmp_ge_u32 s16, s28
	s_cbranch_scc1 .LBB16_21
; %bb.1:
	s_clause 0x6
	s_load_b32 s2, s[0:1], 0x0
	s_load_b64 s[18:19], s[0:1], 0x0
	s_load_b32 s3, s[0:1], 0x64
	s_load_b128 s[4:7], s[0:1], 0x8
	s_load_b64 s[20:21], s[0:1], 0x30
	s_load_b128 s[8:11], s[0:1], 0x20
	s_load_b128 s[12:15], s[0:1], 0x40
	s_wait_kmcnt 0x0
	s_bitcmp1_b32 s2, 0
	s_cselect_b32 s2, -1, 0
	s_delay_alu instid0(SALU_CYCLE_1)
	s_xor_b32 s29, s2, -1
	s_bitcmp1_b32 s18, 8
	s_cselect_b32 s17, -1, 0
	s_and_b32 s2, s3, 0xffff
	s_ashr_i32 s3, s19, 31
	v_mad_co_u64_u32 v[0:1], null, ttmp9, s2, v[0:1]
	s_mov_b32 s2, s19
	s_lshl_b64 s[6:7], s[6:7], 3
	s_wait_alu 0xfffe
	s_lshl_b64 s[0:1], s[2:3], 3
	s_lshl_b64 s[10:11], s[10:11], 3
	s_wait_alu 0xfffe
	s_add_nc_u64 s[22:23], s[0:1], -8
	s_xor_b32 s18, s17, -1
	v_ashrrev_i32_e32 v1, 31, v0
	v_add_nc_u32_e32 v2, 1, v0
	v_add_co_u32 v3, vcc_lo, v0, -1
	v_mad_co_i64_i32 v[8:9], null, v0, s19, 0
	s_delay_alu instid0(VALU_DEP_4) | instskip(NEXT) | instid1(VALU_DEP_4)
	v_add_co_ci_u32_e64 v4, null, -1, v1, vcc_lo
	v_mad_co_u64_u32 v[12:13], null, v2, v0, 0
	s_delay_alu instid0(VALU_DEP_4) | instskip(SKIP_1) | instid1(VALU_DEP_4)
	v_mul_lo_u32 v5, v3, v1
	v_mad_co_u64_u32 v[14:15], null, v3, v0, 0
	v_mul_lo_u32 v20, v4, v0
	v_ashrrev_i32_e32 v3, 31, v2
	v_mul_lo_u32 v26, s21, v2
	v_mov_b32_e32 v4, v13
	v_mad_co_u64_u32 v[18:19], null, s20, v2, 0
	s_delay_alu instid0(VALU_DEP_4)
	v_mul_lo_u32 v13, s20, v3
	v_mul_lo_u32 v24, s23, v0
	v_add3_u32 v15, v15, v5, v20
	v_mad_co_u64_u32 v[20:21], null, v2, v1, v[4:5]
	v_mad_co_u64_u32 v[10:11], null, s22, v0, s[6:7]
	v_mul_lo_u32 v27, s22, v1
	s_delay_alu instid0(VALU_DEP_4)
	v_lshrrev_b64 v[14:15], 1, v[14:15]
	v_lshlrev_b64_e32 v[4:5], 3, v[0:1]
	v_add3_u32 v19, v19, v13, v26
	v_mov_b32_e32 v13, v20
	v_lshlrev_b64_e32 v[21:22], 3, v[2:3]
	v_mad_co_i64_i32 v[16:17], null, v2, v0, 0
	v_sub_co_u32 v8, vcc_lo, v8, v14
	v_mul_lo_u32 v23, s21, v0
	v_mad_co_u64_u32 v[6:7], null, s20, v0, 0
	v_mul_lo_u32 v25, s20, v1
	v_add3_u32 v11, v24, v11, v27
	s_wait_alu 0xfffd
	v_sub_co_ci_u32_e64 v9, null, v9, v15, vcc_lo
	v_add_co_u32 v1, vcc_lo, s12, v4
	s_wait_alu 0xfffd
	v_add_co_ci_u32_e64 v3, null, s13, v5, vcc_lo
	v_lshlrev_b64_e32 v[18:19], 3, v[18:19]
	v_add_co_u32 v20, vcc_lo, v10, v21
	s_wait_alu 0xfffd
	v_add_co_ci_u32_e64 v21, null, v11, v22, vcc_lo
	v_lshlrev_b64_e32 v[10:11], 3, v[14:15]
	v_lshrrev_b64 v[16:17], 1, v[16:17]
	v_lshrrev_b64 v[12:13], 1, v[12:13]
	v_add3_u32 v7, v7, v25, v23
	v_add_co_u32 v22, vcc_lo, v18, s10
	s_wait_alu 0xfffd
	v_add_co_ci_u32_e64 v23, null, s11, v19, vcc_lo
	v_sub_co_u32 v24, vcc_lo, v20, v10
	s_wait_alu 0xfffd
	v_sub_co_ci_u32_e64 v25, null, v21, v11, vcc_lo
	v_lshlrev_b64_e32 v[6:7], 3, v[6:7]
	v_lshlrev_b64_e32 v[8:9], 3, v[8:9]
	v_lshlrev_b64_e32 v[10:11], 3, v[16:17]
	v_lshlrev_b64_e32 v[12:13], 3, v[12:13]
	v_cmp_gt_i32_e64 s0, s19, v0
	v_cmp_lt_i32_e64 s1, 0, v0
	v_cmp_gt_i32_e64 s2, s19, v2
	v_cndmask_b32_e64 v26, 0, 1, s18
	s_mov_b32 s17, 0
	s_lshl_b64 s[12:13], s[20:21], 3
	s_branch .LBB16_5
.LBB16_2:                               ;   in Loop: Header=BB16_5 Depth=1
	s_wait_alu 0xfffe
	s_or_b32 exec_lo, exec_lo, s24
	s_wait_loadcnt_dscnt 0x0
	s_delay_alu instid0(VALU_DEP_1)
	v_dual_mov_b32 v17, v15 :: v_dual_mov_b32 v16, v14
.LBB16_3:                               ;   in Loop: Header=BB16_5 Depth=1
	s_mul_u64 s[20:21], s[14:15], s[16:17]
	s_wait_alu 0xfffe
	s_lshl_b64 s[20:21], s[20:21], 3
	s_wait_loadcnt_dscnt 0x0
	s_wait_alu 0xfffe
	v_add_co_u32 v14, vcc_lo, v1, s20
	s_wait_alu 0xfffd
	v_add_co_ci_u32_e64 v15, null, s21, v3, vcc_lo
	global_store_b64 v[14:15], v[16:17], off
.LBB16_4:                               ;   in Loop: Header=BB16_5 Depth=1
	s_or_b32 exec_lo, exec_lo, s30
	s_add_co_i32 s16, s16, 0x10000
	s_delay_alu instid0(SALU_CYCLE_1)
	s_cmp_lt_u32 s16, s28
	s_cbranch_scc0 .LBB16_21
.LBB16_5:                               ; =>This Loop Header: Depth=1
                                        ;     Child Loop BB16_11 Depth 2
                                        ;     Child Loop BB16_19 Depth 2
	s_and_saveexec_b32 s30, s0
	s_cbranch_execz .LBB16_4
; %bb.6:                                ;   in Loop: Header=BB16_5 Depth=1
	s_lshl_b64 s[22:23], s[16:17], 3
	v_cmp_ne_u32_e64 s3, 1, v26
	s_wait_alu 0xfffe
	s_add_nc_u64 s[20:21], s[8:9], s[22:23]
	s_add_nc_u64 s[22:23], s[4:5], s[22:23]
	s_load_b64 s[24:25], s[20:21], 0x0
	s_load_b64 s[26:27], s[22:23], 0x0
	s_mov_b32 s31, -1
                                        ; implicit-def: $vgpr16_vgpr17
	s_wait_kmcnt 0x0
	s_add_nc_u64 s[20:21], s[24:25], s[10:11]
	s_add_nc_u64 s[22:23], s[26:27], s[6:7]
	s_wait_alu 0xfffe
	v_add_co_u32 v14, vcc_lo, s20, v6
	s_wait_alu 0xfffd
	v_add_co_ci_u32_e64 v15, null, s21, v7, vcc_lo
	s_and_b32 vcc_lo, exec_lo, s29
	flat_load_b64 v[14:15], v[14:15]
	s_wait_alu 0xfffe
	s_cbranch_vccz .LBB16_14
; %bb.7:                                ;   in Loop: Header=BB16_5 Depth=1
	s_wait_loadcnt_dscnt 0x0
	v_dual_mov_b32 v17, v15 :: v_dual_mov_b32 v16, v14
	s_and_b32 vcc_lo, exec_lo, s3
	s_wait_alu 0xfffe
	s_cbranch_vccnz .LBB16_9
; %bb.8:                                ;   in Loop: Header=BB16_5 Depth=1
	v_add_co_u32 v16, vcc_lo, s22, v8
	s_wait_alu 0xfffd
	v_add_co_ci_u32_e64 v17, null, s23, v9, vcc_lo
	flat_load_b64 v[16:17], v[16:17]
	s_wait_loadcnt_dscnt 0x0
	v_mul_f64_e32 v[16:17], v[14:15], v[16:17]
.LBB16_9:                               ;   in Loop: Header=BB16_5 Depth=1
	s_and_saveexec_b32 s31, s2
	s_cbranch_execz .LBB16_13
; %bb.10:                               ;   in Loop: Header=BB16_5 Depth=1
	v_add_co_u32 v18, vcc_lo, s24, v22
	s_wait_alu 0xfffd
	v_add_co_ci_u32_e64 v19, null, s25, v23, vcc_lo
	v_add_co_u32 v20, vcc_lo, s26, v24
	s_wait_alu 0xfffd
	v_add_co_ci_u32_e64 v21, null, s27, v25, vcc_lo
	v_mov_b32_e32 v27, v2
	s_mov_b32 s24, 0
.LBB16_11:                              ;   Parent Loop BB16_5 Depth=1
                                        ; =>  This Inner Loop Header: Depth=2
	flat_load_b64 v[28:29], v[20:21]
	flat_load_b64 v[30:31], v[18:19]
	v_add_nc_u32_e32 v27, 1, v27
	v_add_co_u32 v18, vcc_lo, v18, s12
	s_wait_alu 0xfffd
	v_add_co_ci_u32_e64 v19, null, s13, v19, vcc_lo
	s_delay_alu instid0(VALU_DEP_3)
	v_cmp_le_i32_e32 vcc_lo, s19, v27
	v_add_co_u32 v20, s3, v20, 8
	s_wait_alu 0xf1ff
	v_add_co_ci_u32_e64 v21, null, 0, v21, s3
	s_wait_alu 0xfffe
	s_or_b32 s24, vcc_lo, s24
	s_wait_loadcnt_dscnt 0x0
	v_fma_f64 v[16:17], v[28:29], v[30:31], v[16:17]
	s_wait_alu 0xfffe
	s_and_not1_b32 exec_lo, exec_lo, s24
	s_cbranch_execnz .LBB16_11
; %bb.12:                               ;   in Loop: Header=BB16_5 Depth=1
	s_or_b32 exec_lo, exec_lo, s24
.LBB16_13:                              ;   in Loop: Header=BB16_5 Depth=1
	s_delay_alu instid0(SALU_CYCLE_1)
	s_or_b32 exec_lo, exec_lo, s31
	s_mov_b32 s31, 0
.LBB16_14:                              ;   in Loop: Header=BB16_5 Depth=1
	s_delay_alu instid0(SALU_CYCLE_1)
	s_and_b32 vcc_lo, exec_lo, s31
	s_wait_alu 0xfffe
	s_cbranch_vccz .LBB16_3
; %bb.15:                               ;   in Loop: Header=BB16_5 Depth=1
	s_and_not1_b32 vcc_lo, exec_lo, s18
	s_wait_alu 0xfffe
	s_cbranch_vccnz .LBB16_17
; %bb.16:                               ;   in Loop: Header=BB16_5 Depth=1
	v_add_co_u32 v16, vcc_lo, s22, v10
	s_wait_alu 0xfffd
	v_add_co_ci_u32_e64 v17, null, s23, v11, vcc_lo
	s_delay_alu instid0(VALU_DEP_2) | instskip(SKIP_1) | instid1(VALU_DEP_2)
	v_add_co_u32 v16, vcc_lo, v16, v4
	s_wait_alu 0xfffd
	v_add_co_ci_u32_e64 v17, null, v17, v5, vcc_lo
	flat_load_b64 v[16:17], v[16:17]
	s_wait_loadcnt_dscnt 0x0
	v_mul_f64_e32 v[14:15], v[14:15], v[16:17]
.LBB16_17:                              ;   in Loop: Header=BB16_5 Depth=1
	s_and_saveexec_b32 s24, s1
	s_cbranch_execz .LBB16_2
; %bb.18:                               ;   in Loop: Header=BB16_5 Depth=1
	v_add_co_u32 v16, vcc_lo, s22, v12
	s_wait_alu 0xfffd
	v_add_co_ci_u32_e64 v17, null, s23, v13, vcc_lo
	v_mov_b32_e32 v18, v0
	s_mov_b32 s22, 0
.LBB16_19:                              ;   Parent Loop BB16_5 Depth=1
                                        ; =>  This Inner Loop Header: Depth=2
	v_dual_mov_b32 v19, s20 :: v_dual_mov_b32 v20, s21
	s_delay_alu instid0(VALU_DEP_2)
	v_add_nc_u32_e32 v18, -1, v18
	s_add_nc_u64 s[20:21], s[20:21], s[12:13]
	flat_load_b64 v[27:28], v[16:17]
	flat_load_b64 v[19:20], v[19:20]
	v_add_co_u32 v16, s3, v16, 8
	v_cmp_eq_u32_e32 vcc_lo, 0, v18
	s_wait_alu 0xf1ff
	v_add_co_ci_u32_e64 v17, null, 0, v17, s3
	s_wait_alu 0xfffe
	s_or_b32 s22, vcc_lo, s22
	s_wait_loadcnt_dscnt 0x0
	v_fma_f64 v[14:15], v[27:28], v[19:20], v[14:15]
	s_wait_alu 0xfffe
	s_and_not1_b32 exec_lo, exec_lo, s22
	s_cbranch_execnz .LBB16_19
; %bb.20:                               ;   in Loop: Header=BB16_5 Depth=1
	s_or_b32 exec_lo, exec_lo, s22
	s_branch .LBB16_2
.LBB16_21:
	s_endpgm
	.section	.rodata,"a",@progbits
	.p2align	6, 0x0
	.amdhsa_kernel _ZL20rocblas_tpmvt_kernelILi512EPKPKdPKPdS4_EvbbiT0_llT1_lllT2_li
		.amdhsa_group_segment_fixed_size 0
		.amdhsa_private_segment_fixed_size 0
		.amdhsa_kernarg_size 344
		.amdhsa_user_sgpr_count 2
		.amdhsa_user_sgpr_dispatch_ptr 0
		.amdhsa_user_sgpr_queue_ptr 0
		.amdhsa_user_sgpr_kernarg_segment_ptr 1
		.amdhsa_user_sgpr_dispatch_id 0
		.amdhsa_user_sgpr_private_segment_size 0
		.amdhsa_wavefront_size32 1
		.amdhsa_uses_dynamic_stack 0
		.amdhsa_enable_private_segment 0
		.amdhsa_system_sgpr_workgroup_id_x 1
		.amdhsa_system_sgpr_workgroup_id_y 0
		.amdhsa_system_sgpr_workgroup_id_z 1
		.amdhsa_system_sgpr_workgroup_info 0
		.amdhsa_system_vgpr_workitem_id 0
		.amdhsa_next_free_vgpr 32
		.amdhsa_next_free_sgpr 32
		.amdhsa_reserve_vcc 1
		.amdhsa_float_round_mode_32 0
		.amdhsa_float_round_mode_16_64 0
		.amdhsa_float_denorm_mode_32 3
		.amdhsa_float_denorm_mode_16_64 3
		.amdhsa_fp16_overflow 0
		.amdhsa_workgroup_processor_mode 1
		.amdhsa_memory_ordered 1
		.amdhsa_forward_progress 1
		.amdhsa_inst_pref_size 10
		.amdhsa_round_robin_scheduling 0
		.amdhsa_exception_fp_ieee_invalid_op 0
		.amdhsa_exception_fp_denorm_src 0
		.amdhsa_exception_fp_ieee_div_zero 0
		.amdhsa_exception_fp_ieee_overflow 0
		.amdhsa_exception_fp_ieee_underflow 0
		.amdhsa_exception_fp_ieee_inexact 0
		.amdhsa_exception_int_div_zero 0
	.end_amdhsa_kernel
	.section	.text._ZL20rocblas_tpmvt_kernelILi512EPKPKdPKPdS4_EvbbiT0_llT1_lllT2_li,"axG",@progbits,_ZL20rocblas_tpmvt_kernelILi512EPKPKdPKPdS4_EvbbiT0_llT1_lllT2_li,comdat
.Lfunc_end16:
	.size	_ZL20rocblas_tpmvt_kernelILi512EPKPKdPKPdS4_EvbbiT0_llT1_lllT2_li, .Lfunc_end16-_ZL20rocblas_tpmvt_kernelILi512EPKPKdPKPdS4_EvbbiT0_llT1_lllT2_li
                                        ; -- End function
	.set _ZL20rocblas_tpmvt_kernelILi512EPKPKdPKPdS4_EvbbiT0_llT1_lllT2_li.num_vgpr, 32
	.set _ZL20rocblas_tpmvt_kernelILi512EPKPKdPKPdS4_EvbbiT0_llT1_lllT2_li.num_agpr, 0
	.set _ZL20rocblas_tpmvt_kernelILi512EPKPKdPKPdS4_EvbbiT0_llT1_lllT2_li.numbered_sgpr, 32
	.set _ZL20rocblas_tpmvt_kernelILi512EPKPKdPKPdS4_EvbbiT0_llT1_lllT2_li.num_named_barrier, 0
	.set _ZL20rocblas_tpmvt_kernelILi512EPKPKdPKPdS4_EvbbiT0_llT1_lllT2_li.private_seg_size, 0
	.set _ZL20rocblas_tpmvt_kernelILi512EPKPKdPKPdS4_EvbbiT0_llT1_lllT2_li.uses_vcc, 1
	.set _ZL20rocblas_tpmvt_kernelILi512EPKPKdPKPdS4_EvbbiT0_llT1_lllT2_li.uses_flat_scratch, 0
	.set _ZL20rocblas_tpmvt_kernelILi512EPKPKdPKPdS4_EvbbiT0_llT1_lllT2_li.has_dyn_sized_stack, 0
	.set _ZL20rocblas_tpmvt_kernelILi512EPKPKdPKPdS4_EvbbiT0_llT1_lllT2_li.has_recursion, 0
	.set _ZL20rocblas_tpmvt_kernelILi512EPKPKdPKPdS4_EvbbiT0_llT1_lllT2_li.has_indirect_call, 0
	.section	.AMDGPU.csdata,"",@progbits
; Kernel info:
; codeLenInByte = 1272
; TotalNumSgprs: 34
; NumVgprs: 32
; ScratchSize: 0
; MemoryBound: 0
; FloatMode: 240
; IeeeMode: 1
; LDSByteSize: 0 bytes/workgroup (compile time only)
; SGPRBlocks: 0
; VGPRBlocks: 3
; NumSGPRsForWavesPerEU: 34
; NumVGPRsForWavesPerEU: 32
; Occupancy: 16
; WaveLimiterHint : 1
; COMPUTE_PGM_RSRC2:SCRATCH_EN: 0
; COMPUTE_PGM_RSRC2:USER_SGPR: 2
; COMPUTE_PGM_RSRC2:TRAP_HANDLER: 0
; COMPUTE_PGM_RSRC2:TGID_X_EN: 1
; COMPUTE_PGM_RSRC2:TGID_Y_EN: 0
; COMPUTE_PGM_RSRC2:TGID_Z_EN: 1
; COMPUTE_PGM_RSRC2:TIDIG_COMP_CNT: 0
	.section	.text._ZL20rocblas_tpmvc_kernelILi512EPKPKdPKPdS4_EvbbiT0_llT1_lllT2_li,"axG",@progbits,_ZL20rocblas_tpmvc_kernelILi512EPKPKdPKPdS4_EvbbiT0_llT1_lllT2_li,comdat
	.globl	_ZL20rocblas_tpmvc_kernelILi512EPKPKdPKPdS4_EvbbiT0_llT1_lllT2_li ; -- Begin function _ZL20rocblas_tpmvc_kernelILi512EPKPKdPKPdS4_EvbbiT0_llT1_lllT2_li
	.p2align	8
	.type	_ZL20rocblas_tpmvc_kernelILi512EPKPKdPKPdS4_EvbbiT0_llT1_lllT2_li,@function
_ZL20rocblas_tpmvc_kernelILi512EPKPKdPKPdS4_EvbbiT0_llT1_lllT2_li: ; @_ZL20rocblas_tpmvc_kernelILi512EPKPKdPKPdS4_EvbbiT0_llT1_lllT2_li
; %bb.0:
	s_load_b32 s28, s[0:1], 0x50
	s_lshr_b32 s16, ttmp7, 16
	s_wait_kmcnt 0x0
	s_cmp_ge_u32 s16, s28
	s_cbranch_scc1 .LBB17_21
; %bb.1:
	s_clause 0x6
	s_load_b32 s2, s[0:1], 0x0
	s_load_b64 s[18:19], s[0:1], 0x0
	s_load_b32 s3, s[0:1], 0x64
	s_load_b128 s[4:7], s[0:1], 0x8
	s_load_b64 s[20:21], s[0:1], 0x30
	s_load_b128 s[8:11], s[0:1], 0x20
	s_load_b128 s[12:15], s[0:1], 0x40
	s_wait_kmcnt 0x0
	s_bitcmp1_b32 s2, 0
	s_cselect_b32 s2, -1, 0
	s_delay_alu instid0(SALU_CYCLE_1)
	s_xor_b32 s29, s2, -1
	s_bitcmp1_b32 s18, 8
	s_cselect_b32 s17, -1, 0
	s_and_b32 s2, s3, 0xffff
	s_ashr_i32 s3, s19, 31
	v_mad_co_u64_u32 v[0:1], null, ttmp9, s2, v[0:1]
	s_mov_b32 s2, s19
	s_lshl_b64 s[6:7], s[6:7], 3
	s_wait_alu 0xfffe
	s_lshl_b64 s[0:1], s[2:3], 3
	s_lshl_b64 s[10:11], s[10:11], 3
	s_wait_alu 0xfffe
	s_add_nc_u64 s[22:23], s[0:1], -8
	s_xor_b32 s18, s17, -1
	v_ashrrev_i32_e32 v1, 31, v0
	v_add_nc_u32_e32 v2, 1, v0
	v_add_co_u32 v3, vcc_lo, v0, -1
	v_mad_co_i64_i32 v[8:9], null, v0, s19, 0
	s_delay_alu instid0(VALU_DEP_4) | instskip(NEXT) | instid1(VALU_DEP_4)
	v_add_co_ci_u32_e64 v4, null, -1, v1, vcc_lo
	v_mad_co_u64_u32 v[12:13], null, v2, v0, 0
	s_delay_alu instid0(VALU_DEP_4) | instskip(SKIP_1) | instid1(VALU_DEP_4)
	v_mul_lo_u32 v5, v3, v1
	v_mad_co_u64_u32 v[14:15], null, v3, v0, 0
	v_mul_lo_u32 v20, v4, v0
	v_ashrrev_i32_e32 v3, 31, v2
	v_mul_lo_u32 v26, s21, v2
	v_mov_b32_e32 v4, v13
	v_mad_co_u64_u32 v[18:19], null, s20, v2, 0
	s_delay_alu instid0(VALU_DEP_4)
	v_mul_lo_u32 v13, s20, v3
	v_mul_lo_u32 v24, s23, v0
	v_add3_u32 v15, v15, v5, v20
	v_mad_co_u64_u32 v[20:21], null, v2, v1, v[4:5]
	v_mad_co_u64_u32 v[10:11], null, s22, v0, s[6:7]
	v_mul_lo_u32 v27, s22, v1
	s_delay_alu instid0(VALU_DEP_4)
	v_lshrrev_b64 v[14:15], 1, v[14:15]
	v_lshlrev_b64_e32 v[4:5], 3, v[0:1]
	v_add3_u32 v19, v19, v13, v26
	v_mov_b32_e32 v13, v20
	v_lshlrev_b64_e32 v[21:22], 3, v[2:3]
	v_mad_co_i64_i32 v[16:17], null, v2, v0, 0
	v_sub_co_u32 v8, vcc_lo, v8, v14
	v_mul_lo_u32 v23, s21, v0
	v_mad_co_u64_u32 v[6:7], null, s20, v0, 0
	v_mul_lo_u32 v25, s20, v1
	v_add3_u32 v11, v24, v11, v27
	s_wait_alu 0xfffd
	v_sub_co_ci_u32_e64 v9, null, v9, v15, vcc_lo
	v_add_co_u32 v1, vcc_lo, s12, v4
	s_wait_alu 0xfffd
	v_add_co_ci_u32_e64 v3, null, s13, v5, vcc_lo
	v_lshlrev_b64_e32 v[18:19], 3, v[18:19]
	v_add_co_u32 v20, vcc_lo, v10, v21
	s_wait_alu 0xfffd
	v_add_co_ci_u32_e64 v21, null, v11, v22, vcc_lo
	v_lshlrev_b64_e32 v[10:11], 3, v[14:15]
	v_lshrrev_b64 v[16:17], 1, v[16:17]
	v_lshrrev_b64 v[12:13], 1, v[12:13]
	v_add3_u32 v7, v7, v25, v23
	v_add_co_u32 v22, vcc_lo, v18, s10
	s_wait_alu 0xfffd
	v_add_co_ci_u32_e64 v23, null, s11, v19, vcc_lo
	v_sub_co_u32 v24, vcc_lo, v20, v10
	s_wait_alu 0xfffd
	v_sub_co_ci_u32_e64 v25, null, v21, v11, vcc_lo
	v_lshlrev_b64_e32 v[6:7], 3, v[6:7]
	v_lshlrev_b64_e32 v[8:9], 3, v[8:9]
	;; [unrolled: 1-line block ×4, first 2 shown]
	v_cmp_gt_i32_e64 s0, s19, v0
	v_cmp_lt_i32_e64 s1, 0, v0
	v_cmp_gt_i32_e64 s2, s19, v2
	v_cndmask_b32_e64 v26, 0, 1, s18
	s_mov_b32 s17, 0
	s_lshl_b64 s[12:13], s[20:21], 3
	s_branch .LBB17_5
.LBB17_2:                               ;   in Loop: Header=BB17_5 Depth=1
	s_wait_alu 0xfffe
	s_or_b32 exec_lo, exec_lo, s24
	s_wait_loadcnt_dscnt 0x0
	s_delay_alu instid0(VALU_DEP_1)
	v_dual_mov_b32 v17, v15 :: v_dual_mov_b32 v16, v14
.LBB17_3:                               ;   in Loop: Header=BB17_5 Depth=1
	s_mul_u64 s[20:21], s[14:15], s[16:17]
	s_wait_alu 0xfffe
	s_lshl_b64 s[20:21], s[20:21], 3
	s_wait_loadcnt_dscnt 0x0
	s_wait_alu 0xfffe
	v_add_co_u32 v14, vcc_lo, v1, s20
	s_wait_alu 0xfffd
	v_add_co_ci_u32_e64 v15, null, s21, v3, vcc_lo
	global_store_b64 v[14:15], v[16:17], off
.LBB17_4:                               ;   in Loop: Header=BB17_5 Depth=1
	s_or_b32 exec_lo, exec_lo, s30
	s_add_co_i32 s16, s16, 0x10000
	s_delay_alu instid0(SALU_CYCLE_1)
	s_cmp_lt_u32 s16, s28
	s_cbranch_scc0 .LBB17_21
.LBB17_5:                               ; =>This Loop Header: Depth=1
                                        ;     Child Loop BB17_11 Depth 2
                                        ;     Child Loop BB17_19 Depth 2
	s_and_saveexec_b32 s30, s0
	s_cbranch_execz .LBB17_4
; %bb.6:                                ;   in Loop: Header=BB17_5 Depth=1
	s_lshl_b64 s[22:23], s[16:17], 3
	v_cmp_ne_u32_e64 s3, 1, v26
	s_wait_alu 0xfffe
	s_add_nc_u64 s[20:21], s[8:9], s[22:23]
	s_add_nc_u64 s[22:23], s[4:5], s[22:23]
	s_load_b64 s[24:25], s[20:21], 0x0
	s_load_b64 s[26:27], s[22:23], 0x0
	s_mov_b32 s31, -1
                                        ; implicit-def: $vgpr16_vgpr17
	s_wait_kmcnt 0x0
	s_add_nc_u64 s[20:21], s[24:25], s[10:11]
	s_add_nc_u64 s[22:23], s[26:27], s[6:7]
	s_wait_alu 0xfffe
	v_add_co_u32 v14, vcc_lo, s20, v6
	s_wait_alu 0xfffd
	v_add_co_ci_u32_e64 v15, null, s21, v7, vcc_lo
	s_and_b32 vcc_lo, exec_lo, s29
	flat_load_b64 v[14:15], v[14:15]
	s_wait_alu 0xfffe
	s_cbranch_vccz .LBB17_14
; %bb.7:                                ;   in Loop: Header=BB17_5 Depth=1
	s_wait_loadcnt_dscnt 0x0
	v_dual_mov_b32 v17, v15 :: v_dual_mov_b32 v16, v14
	s_and_b32 vcc_lo, exec_lo, s3
	s_wait_alu 0xfffe
	s_cbranch_vccnz .LBB17_9
; %bb.8:                                ;   in Loop: Header=BB17_5 Depth=1
	v_add_co_u32 v16, vcc_lo, s22, v8
	s_wait_alu 0xfffd
	v_add_co_ci_u32_e64 v17, null, s23, v9, vcc_lo
	flat_load_b64 v[16:17], v[16:17]
	s_wait_loadcnt_dscnt 0x0
	v_mul_f64_e32 v[16:17], v[14:15], v[16:17]
.LBB17_9:                               ;   in Loop: Header=BB17_5 Depth=1
	s_and_saveexec_b32 s31, s2
	s_cbranch_execz .LBB17_13
; %bb.10:                               ;   in Loop: Header=BB17_5 Depth=1
	v_add_co_u32 v18, vcc_lo, s24, v22
	s_wait_alu 0xfffd
	v_add_co_ci_u32_e64 v19, null, s25, v23, vcc_lo
	v_add_co_u32 v20, vcc_lo, s26, v24
	s_wait_alu 0xfffd
	v_add_co_ci_u32_e64 v21, null, s27, v25, vcc_lo
	v_mov_b32_e32 v27, v2
	s_mov_b32 s24, 0
.LBB17_11:                              ;   Parent Loop BB17_5 Depth=1
                                        ; =>  This Inner Loop Header: Depth=2
	flat_load_b64 v[28:29], v[20:21]
	flat_load_b64 v[30:31], v[18:19]
	v_add_nc_u32_e32 v27, 1, v27
	v_add_co_u32 v18, vcc_lo, v18, s12
	s_wait_alu 0xfffd
	v_add_co_ci_u32_e64 v19, null, s13, v19, vcc_lo
	s_delay_alu instid0(VALU_DEP_3)
	v_cmp_le_i32_e32 vcc_lo, s19, v27
	v_add_co_u32 v20, s3, v20, 8
	s_wait_alu 0xf1ff
	v_add_co_ci_u32_e64 v21, null, 0, v21, s3
	s_wait_alu 0xfffe
	s_or_b32 s24, vcc_lo, s24
	s_wait_loadcnt_dscnt 0x0
	v_fma_f64 v[16:17], v[28:29], v[30:31], v[16:17]
	s_wait_alu 0xfffe
	s_and_not1_b32 exec_lo, exec_lo, s24
	s_cbranch_execnz .LBB17_11
; %bb.12:                               ;   in Loop: Header=BB17_5 Depth=1
	s_or_b32 exec_lo, exec_lo, s24
.LBB17_13:                              ;   in Loop: Header=BB17_5 Depth=1
	s_delay_alu instid0(SALU_CYCLE_1)
	s_or_b32 exec_lo, exec_lo, s31
	s_mov_b32 s31, 0
.LBB17_14:                              ;   in Loop: Header=BB17_5 Depth=1
	s_delay_alu instid0(SALU_CYCLE_1)
	s_and_b32 vcc_lo, exec_lo, s31
	s_wait_alu 0xfffe
	s_cbranch_vccz .LBB17_3
; %bb.15:                               ;   in Loop: Header=BB17_5 Depth=1
	s_and_not1_b32 vcc_lo, exec_lo, s18
	s_wait_alu 0xfffe
	s_cbranch_vccnz .LBB17_17
; %bb.16:                               ;   in Loop: Header=BB17_5 Depth=1
	v_add_co_u32 v16, vcc_lo, s22, v10
	s_wait_alu 0xfffd
	v_add_co_ci_u32_e64 v17, null, s23, v11, vcc_lo
	s_delay_alu instid0(VALU_DEP_2) | instskip(SKIP_1) | instid1(VALU_DEP_2)
	v_add_co_u32 v16, vcc_lo, v16, v4
	s_wait_alu 0xfffd
	v_add_co_ci_u32_e64 v17, null, v17, v5, vcc_lo
	flat_load_b64 v[16:17], v[16:17]
	s_wait_loadcnt_dscnt 0x0
	v_mul_f64_e32 v[14:15], v[14:15], v[16:17]
.LBB17_17:                              ;   in Loop: Header=BB17_5 Depth=1
	s_and_saveexec_b32 s24, s1
	s_cbranch_execz .LBB17_2
; %bb.18:                               ;   in Loop: Header=BB17_5 Depth=1
	v_add_co_u32 v16, vcc_lo, s22, v12
	s_wait_alu 0xfffd
	v_add_co_ci_u32_e64 v17, null, s23, v13, vcc_lo
	v_mov_b32_e32 v18, v0
	s_mov_b32 s22, 0
.LBB17_19:                              ;   Parent Loop BB17_5 Depth=1
                                        ; =>  This Inner Loop Header: Depth=2
	v_dual_mov_b32 v19, s20 :: v_dual_mov_b32 v20, s21
	s_delay_alu instid0(VALU_DEP_2)
	v_add_nc_u32_e32 v18, -1, v18
	s_add_nc_u64 s[20:21], s[20:21], s[12:13]
	flat_load_b64 v[27:28], v[16:17]
	flat_load_b64 v[19:20], v[19:20]
	v_add_co_u32 v16, s3, v16, 8
	v_cmp_eq_u32_e32 vcc_lo, 0, v18
	s_wait_alu 0xf1ff
	v_add_co_ci_u32_e64 v17, null, 0, v17, s3
	s_wait_alu 0xfffe
	s_or_b32 s22, vcc_lo, s22
	s_wait_loadcnt_dscnt 0x0
	v_fma_f64 v[14:15], v[27:28], v[19:20], v[14:15]
	s_wait_alu 0xfffe
	s_and_not1_b32 exec_lo, exec_lo, s22
	s_cbranch_execnz .LBB17_19
; %bb.20:                               ;   in Loop: Header=BB17_5 Depth=1
	s_or_b32 exec_lo, exec_lo, s22
	s_branch .LBB17_2
.LBB17_21:
	s_endpgm
	.section	.rodata,"a",@progbits
	.p2align	6, 0x0
	.amdhsa_kernel _ZL20rocblas_tpmvc_kernelILi512EPKPKdPKPdS4_EvbbiT0_llT1_lllT2_li
		.amdhsa_group_segment_fixed_size 0
		.amdhsa_private_segment_fixed_size 0
		.amdhsa_kernarg_size 344
		.amdhsa_user_sgpr_count 2
		.amdhsa_user_sgpr_dispatch_ptr 0
		.amdhsa_user_sgpr_queue_ptr 0
		.amdhsa_user_sgpr_kernarg_segment_ptr 1
		.amdhsa_user_sgpr_dispatch_id 0
		.amdhsa_user_sgpr_private_segment_size 0
		.amdhsa_wavefront_size32 1
		.amdhsa_uses_dynamic_stack 0
		.amdhsa_enable_private_segment 0
		.amdhsa_system_sgpr_workgroup_id_x 1
		.amdhsa_system_sgpr_workgroup_id_y 0
		.amdhsa_system_sgpr_workgroup_id_z 1
		.amdhsa_system_sgpr_workgroup_info 0
		.amdhsa_system_vgpr_workitem_id 0
		.amdhsa_next_free_vgpr 32
		.amdhsa_next_free_sgpr 32
		.amdhsa_reserve_vcc 1
		.amdhsa_float_round_mode_32 0
		.amdhsa_float_round_mode_16_64 0
		.amdhsa_float_denorm_mode_32 3
		.amdhsa_float_denorm_mode_16_64 3
		.amdhsa_fp16_overflow 0
		.amdhsa_workgroup_processor_mode 1
		.amdhsa_memory_ordered 1
		.amdhsa_forward_progress 1
		.amdhsa_inst_pref_size 10
		.amdhsa_round_robin_scheduling 0
		.amdhsa_exception_fp_ieee_invalid_op 0
		.amdhsa_exception_fp_denorm_src 0
		.amdhsa_exception_fp_ieee_div_zero 0
		.amdhsa_exception_fp_ieee_overflow 0
		.amdhsa_exception_fp_ieee_underflow 0
		.amdhsa_exception_fp_ieee_inexact 0
		.amdhsa_exception_int_div_zero 0
	.end_amdhsa_kernel
	.section	.text._ZL20rocblas_tpmvc_kernelILi512EPKPKdPKPdS4_EvbbiT0_llT1_lllT2_li,"axG",@progbits,_ZL20rocblas_tpmvc_kernelILi512EPKPKdPKPdS4_EvbbiT0_llT1_lllT2_li,comdat
.Lfunc_end17:
	.size	_ZL20rocblas_tpmvc_kernelILi512EPKPKdPKPdS4_EvbbiT0_llT1_lllT2_li, .Lfunc_end17-_ZL20rocblas_tpmvc_kernelILi512EPKPKdPKPdS4_EvbbiT0_llT1_lllT2_li
                                        ; -- End function
	.set _ZL20rocblas_tpmvc_kernelILi512EPKPKdPKPdS4_EvbbiT0_llT1_lllT2_li.num_vgpr, 32
	.set _ZL20rocblas_tpmvc_kernelILi512EPKPKdPKPdS4_EvbbiT0_llT1_lllT2_li.num_agpr, 0
	.set _ZL20rocblas_tpmvc_kernelILi512EPKPKdPKPdS4_EvbbiT0_llT1_lllT2_li.numbered_sgpr, 32
	.set _ZL20rocblas_tpmvc_kernelILi512EPKPKdPKPdS4_EvbbiT0_llT1_lllT2_li.num_named_barrier, 0
	.set _ZL20rocblas_tpmvc_kernelILi512EPKPKdPKPdS4_EvbbiT0_llT1_lllT2_li.private_seg_size, 0
	.set _ZL20rocblas_tpmvc_kernelILi512EPKPKdPKPdS4_EvbbiT0_llT1_lllT2_li.uses_vcc, 1
	.set _ZL20rocblas_tpmvc_kernelILi512EPKPKdPKPdS4_EvbbiT0_llT1_lllT2_li.uses_flat_scratch, 0
	.set _ZL20rocblas_tpmvc_kernelILi512EPKPKdPKPdS4_EvbbiT0_llT1_lllT2_li.has_dyn_sized_stack, 0
	.set _ZL20rocblas_tpmvc_kernelILi512EPKPKdPKPdS4_EvbbiT0_llT1_lllT2_li.has_recursion, 0
	.set _ZL20rocblas_tpmvc_kernelILi512EPKPKdPKPdS4_EvbbiT0_llT1_lllT2_li.has_indirect_call, 0
	.section	.AMDGPU.csdata,"",@progbits
; Kernel info:
; codeLenInByte = 1272
; TotalNumSgprs: 34
; NumVgprs: 32
; ScratchSize: 0
; MemoryBound: 0
; FloatMode: 240
; IeeeMode: 1
; LDSByteSize: 0 bytes/workgroup (compile time only)
; SGPRBlocks: 0
; VGPRBlocks: 3
; NumSGPRsForWavesPerEU: 34
; NumVGPRsForWavesPerEU: 32
; Occupancy: 16
; WaveLimiterHint : 1
; COMPUTE_PGM_RSRC2:SCRATCH_EN: 0
; COMPUTE_PGM_RSRC2:USER_SGPR: 2
; COMPUTE_PGM_RSRC2:TRAP_HANDLER: 0
; COMPUTE_PGM_RSRC2:TGID_X_EN: 1
; COMPUTE_PGM_RSRC2:TGID_Y_EN: 0
; COMPUTE_PGM_RSRC2:TGID_Z_EN: 1
; COMPUTE_PGM_RSRC2:TIDIG_COMP_CNT: 0
	.section	.text._ZL20rocblas_tpmvn_kernelILi512EPKPK19rocblas_complex_numIfEPKPS1_S6_EvbbiT0_llT1_lllT2_li,"axG",@progbits,_ZL20rocblas_tpmvn_kernelILi512EPKPK19rocblas_complex_numIfEPKPS1_S6_EvbbiT0_llT1_lllT2_li,comdat
	.globl	_ZL20rocblas_tpmvn_kernelILi512EPKPK19rocblas_complex_numIfEPKPS1_S6_EvbbiT0_llT1_lllT2_li ; -- Begin function _ZL20rocblas_tpmvn_kernelILi512EPKPK19rocblas_complex_numIfEPKPS1_S6_EvbbiT0_llT1_lllT2_li
	.p2align	8
	.type	_ZL20rocblas_tpmvn_kernelILi512EPKPK19rocblas_complex_numIfEPKPS1_S6_EvbbiT0_llT1_lllT2_li,@function
_ZL20rocblas_tpmvn_kernelILi512EPKPK19rocblas_complex_numIfEPKPS1_S6_EvbbiT0_llT1_lllT2_li: ; @_ZL20rocblas_tpmvn_kernelILi512EPKPK19rocblas_complex_numIfEPKPS1_S6_EvbbiT0_llT1_lllT2_li
; %bb.0:
	s_load_b32 s28, s[0:1], 0x50
	s_lshr_b32 s16, ttmp7, 16
	s_wait_kmcnt 0x0
	s_cmp_ge_u32 s16, s28
	s_cbranch_scc1 .LBB18_21
; %bb.1:
	s_clause 0x6
	s_load_b32 s2, s[0:1], 0x0
	s_load_b64 s[18:19], s[0:1], 0x0
	s_load_b32 s3, s[0:1], 0x64
	s_load_b128 s[4:7], s[0:1], 0x20
	s_load_b64 s[22:23], s[0:1], 0x30
	s_load_b128 s[8:11], s[0:1], 0x8
	s_load_b128 s[12:15], s[0:1], 0x40
	v_mov_b32_e32 v22, 0
	s_mov_b32 s17, 0
	s_wait_kmcnt 0x0
	s_bitcmp1_b32 s2, 0
	s_mov_b32 s20, s19
	s_cselect_b32 s2, -1, 0
	s_delay_alu instid0(SALU_CYCLE_1)
	s_xor_b32 s29, s2, -1
	s_bitcmp1_b32 s18, 8
	s_cselect_b32 s24, -1, 0
	s_and_b32 s2, s3, 0xffff
	s_lshl_b64 s[6:7], s[6:7], 3
	v_mad_co_u64_u32 v[0:1], null, ttmp9, s2, v[0:1]
	s_or_b32 s18, s6, 4
	s_xor_b32 s30, s24, -1
	s_ashr_i32 s21, s19, 31
	v_cndmask_b32_e64 v26, 0, 1, s30
	s_mov_b32 s31, s7
	s_lshl_b64 s[10:11], s[10:11], 3
	v_ashrrev_i32_e32 v1, 31, v0
	v_add_co_u32 v3, vcc_lo, v0, -1
	v_add_nc_u32_e32 v2, 1, v0
	v_mul_lo_u32 v18, s23, v0
	s_delay_alu instid0(VALU_DEP_4) | instskip(NEXT) | instid1(VALU_DEP_4)
	v_add_co_ci_u32_e64 v5, null, -1, v1, vcc_lo
	v_mul_lo_u32 v20, v3, v1
	v_mad_co_u64_u32 v[10:11], null, v3, v0, 0
	s_delay_alu instid0(VALU_DEP_3)
	v_mul_lo_u32 v5, v5, v0
	v_ashrrev_i32_e32 v3, 31, v2
	v_mad_co_u64_u32 v[8:9], null, s22, v0, 0
	v_mul_lo_u32 v19, s22, v1
	v_mad_co_i64_i32 v[14:15], null, v2, v0, 0
	v_mul_lo_u32 v21, s23, v2
	v_mad_co_u64_u32 v[16:17], null, s22, v2, 0
	v_mul_lo_u32 v23, s22, v3
	v_add3_u32 v11, v11, v20, v5
	v_mad_co_i64_i32 v[12:13], null, v0, s19, 0
	v_lshlrev_b64_e32 v[6:7], 3, v[0:1]
	v_add3_u32 v9, v9, v19, v18
	v_lshrrev_b64 v[14:15], 1, v[14:15]
	v_lshrrev_b64 v[18:19], 1, v[10:11]
	v_add3_u32 v17, v17, v23, v21
	v_add_nc_u32_e32 v4, 2, v0
	v_add_co_u32 v1, vcc_lo, s12, v6
	s_wait_alu 0xfffd
	v_add_co_ci_u32_e64 v23, null, s13, v7, vcc_lo
	v_lshlrev_b64_e32 v[10:11], 3, v[14:15]
	v_lshlrev_b64_e32 v[14:15], 3, v[16:17]
	v_sub_co_u32 v12, vcc_lo, v12, v18
	s_wait_alu 0xfffd
	v_sub_co_ci_u32_e64 v13, null, v13, v19, vcc_lo
	v_lshlrev_b64_e32 v[8:9], 3, v[8:9]
	s_delay_alu instid0(VALU_DEP_4) | instskip(NEXT) | instid1(VALU_DEP_3)
	v_add_co_u32 v24, vcc_lo, s18, v14
	v_lshlrev_b64_e32 v[12:13], 3, v[12:13]
	v_cmp_gt_i32_e64 s0, s19, v0
	v_cmp_lt_i32_e64 s1, 0, v0
	v_cmp_gt_i32_e64 s2, s19, v2
	v_ashrrev_i32_e32 v5, 31, v4
	s_wait_alu 0xfffd
	v_add_co_ci_u32_e64 v25, null, s7, v15, vcc_lo
	s_lshl_b64 s[12:13], s[22:23], 3
	s_branch .LBB18_5
.LBB18_2:                               ;   in Loop: Header=BB18_5 Depth=1
	s_wait_alu 0xfffe
	s_or_b32 exec_lo, exec_lo, s3
	s_wait_loadcnt_dscnt 0x0
	v_dual_mov_b32 v19, v15 :: v_dual_mov_b32 v18, v14
.LBB18_3:                               ;   in Loop: Header=BB18_5 Depth=1
	s_mul_u64 s[22:23], s[14:15], s[16:17]
	s_wait_alu 0xfffe
	s_lshl_b64 s[22:23], s[22:23], 3
	s_wait_loadcnt_dscnt 0x0
	s_wait_alu 0xfffe
	v_add_co_u32 v14, vcc_lo, v1, s22
	s_wait_alu 0xfffd
	v_add_co_ci_u32_e64 v15, null, s23, v23, vcc_lo
	global_store_b64 v[14:15], v[18:19], off
.LBB18_4:                               ;   in Loop: Header=BB18_5 Depth=1
	s_or_b32 exec_lo, exec_lo, s33
	s_add_co_i32 s16, s16, 0x10000
	s_delay_alu instid0(SALU_CYCLE_1)
	s_cmp_lt_u32 s16, s28
	s_cbranch_scc0 .LBB18_21
.LBB18_5:                               ; =>This Loop Header: Depth=1
                                        ;     Child Loop BB18_11 Depth 2
                                        ;     Child Loop BB18_19 Depth 2
	s_and_saveexec_b32 s33, s0
	s_cbranch_execz .LBB18_4
; %bb.6:                                ;   in Loop: Header=BB18_5 Depth=1
	s_lshl_b64 s[22:23], s[16:17], 3
	v_cmp_ne_u32_e64 s3, 1, v26
	s_wait_alu 0xfffe
	s_add_nc_u64 s[24:25], s[4:5], s[22:23]
	s_add_nc_u64 s[22:23], s[8:9], s[22:23]
	s_clause 0x1
	global_load_b64 v[16:17], v22, s[24:25]
	global_load_b64 v[18:19], v22, s[22:23]
	s_mov_b32 s22, -1
	s_wait_loadcnt 0x1
	v_add_co_u32 v14, vcc_lo, v16, s6
	s_wait_alu 0xfffd
	v_add_co_ci_u32_e64 v15, null, s7, v17, vcc_lo
	s_delay_alu instid0(VALU_DEP_2) | instskip(SKIP_1) | instid1(VALU_DEP_2)
	v_add_co_u32 v14, vcc_lo, v14, v8
	s_wait_alu 0xfffd
	v_add_co_ci_u32_e64 v15, null, v15, v9, vcc_lo
	s_wait_loadcnt 0x0
	v_add_co_u32 v27, vcc_lo, v18, s10
	s_wait_alu 0xfffd
	v_add_co_ci_u32_e64 v28, null, s11, v19, vcc_lo
	flat_load_b64 v[14:15], v[14:15]
	s_and_b32 vcc_lo, exec_lo, s29
                                        ; implicit-def: $vgpr19
	s_wait_alu 0xfffe
	s_cbranch_vccz .LBB18_14
; %bb.7:                                ;   in Loop: Header=BB18_5 Depth=1
	s_wait_loadcnt_dscnt 0x0
	v_dual_mov_b32 v18, v14 :: v_dual_mov_b32 v19, v15
	s_and_b32 vcc_lo, exec_lo, s3
	s_wait_alu 0xfffe
	s_cbranch_vccnz .LBB18_9
; %bb.8:                                ;   in Loop: Header=BB18_5 Depth=1
	v_add_co_u32 v18, vcc_lo, v27, v12
	s_wait_alu 0xfffd
	v_add_co_ci_u32_e64 v19, null, v28, v13, vcc_lo
	flat_load_b64 v[20:21], v[18:19]
	s_wait_loadcnt_dscnt 0x0
	v_mul_f32_e32 v18, v15, v21
	v_mul_f32_e32 v19, v14, v21
	s_delay_alu instid0(VALU_DEP_2) | instskip(NEXT) | instid1(VALU_DEP_2)
	v_fma_f32 v18, v14, v20, -v18
	v_fmac_f32_e32 v19, v15, v20
.LBB18_9:                               ;   in Loop: Header=BB18_5 Depth=1
	s_and_saveexec_b32 s3, s1
	s_cbranch_execz .LBB18_13
; %bb.10:                               ;   in Loop: Header=BB18_5 Depth=1
	v_add_co_u32 v20, vcc_lo, v16, s18
	s_wait_alu 0xfffd
	v_add_co_ci_u32_e64 v21, null, s31, v17, vcc_lo
	v_mov_b32_e32 v29, v0
	s_mov_b64 s[22:23], 0
	s_mov_b32 s34, 0
	s_mov_b64 s[26:27], 0
	s_mov_b64 s[24:25], 0
.LBB18_11:                              ;   Parent Loop BB18_5 Depth=1
                                        ; =>  This Inner Loop Header: Depth=2
	s_wait_alu 0xfffe
	v_add_co_u32 v30, s35, s24, v29
	s_wait_alu 0xf1ff
	v_add_co_ci_u32_e64 v31, null, s25, 0, s35
	s_lshr_b64 s[36:37], s[22:23], 1
	s_add_nc_u64 s[24:25], s[24:25], s[20:21]
	s_wait_alu 0xfffe
	v_sub_co_u32 v30, vcc_lo, v30, s36
	s_wait_alu 0xfffd
	v_subrev_co_ci_u32_e64 v31, null, s37, v31, vcc_lo
	s_add_nc_u64 s[36:37], s[26:27], 2
	s_add_nc_u64 s[22:23], s[22:23], s[26:27]
	s_wait_alu 0xfffe
	s_mov_b64 s[26:27], s[36:37]
	v_lshlrev_b64_e32 v[30:31], 3, v[30:31]
	s_delay_alu instid0(VALU_DEP_1) | instskip(SKIP_1) | instid1(VALU_DEP_2)
	v_add_co_u32 v30, vcc_lo, v27, v30
	s_wait_alu 0xfffd
	v_add_co_ci_u32_e64 v31, null, v28, v31, vcc_lo
	flat_load_b64 v[32:33], v[20:21] offset:-4
	flat_load_b64 v[30:31], v[30:31]
	v_add_nc_u32_e32 v29, -1, v29
	v_add_co_u32 v20, vcc_lo, v20, s12
	s_wait_alu 0xfffd
	v_add_co_ci_u32_e64 v21, null, s13, v21, vcc_lo
	s_wait_loadcnt_dscnt 0x0
	v_mul_f32_e32 v34, v33, v31
	v_mul_f32_e32 v31, v32, v31
	v_cmp_eq_u32_e32 vcc_lo, 0, v29
	s_delay_alu instid0(VALU_DEP_3) | instskip(SKIP_1) | instid1(VALU_DEP_1)
	v_fma_f32 v32, v32, v30, -v34
	s_or_b32 s34, vcc_lo, s34
	v_dual_add_f32 v18, v18, v32 :: v_dual_fmac_f32 v31, v33, v30
	s_delay_alu instid0(VALU_DEP_1)
	v_add_f32_e32 v19, v19, v31
	s_wait_alu 0xfffe
	s_and_not1_b32 exec_lo, exec_lo, s34
	s_cbranch_execnz .LBB18_11
; %bb.12:                               ;   in Loop: Header=BB18_5 Depth=1
	s_or_b32 exec_lo, exec_lo, s34
.LBB18_13:                              ;   in Loop: Header=BB18_5 Depth=1
	s_wait_alu 0xfffe
	s_or_b32 exec_lo, exec_lo, s3
	s_mov_b32 s22, 0
.LBB18_14:                              ;   in Loop: Header=BB18_5 Depth=1
	s_wait_alu 0xfffe
	s_and_b32 vcc_lo, exec_lo, s22
	s_wait_alu 0xfffe
	s_cbranch_vccz .LBB18_3
; %bb.15:                               ;   in Loop: Header=BB18_5 Depth=1
	s_and_not1_b32 vcc_lo, exec_lo, s30
	s_wait_alu 0xfffe
	s_cbranch_vccnz .LBB18_17
; %bb.16:                               ;   in Loop: Header=BB18_5 Depth=1
	v_add_co_u32 v18, vcc_lo, v27, v10
	s_wait_alu 0xfffd
	v_add_co_ci_u32_e64 v19, null, v28, v11, vcc_lo
	s_delay_alu instid0(VALU_DEP_2) | instskip(SKIP_1) | instid1(VALU_DEP_2)
	v_add_co_u32 v18, vcc_lo, v18, v6
	s_wait_alu 0xfffd
	v_add_co_ci_u32_e64 v19, null, v19, v7, vcc_lo
	flat_load_b64 v[18:19], v[18:19]
	s_wait_loadcnt_dscnt 0x0
	v_mul_f32_e32 v20, v15, v19
	v_mul_f32_e32 v19, v14, v19
	s_delay_alu instid0(VALU_DEP_2) | instskip(NEXT) | instid1(VALU_DEP_2)
	v_fma_f32 v14, v14, v18, -v20
	v_fmac_f32_e32 v19, v15, v18
	s_delay_alu instid0(VALU_DEP_1)
	v_mov_b32_e32 v15, v19
.LBB18_17:                              ;   in Loop: Header=BB18_5 Depth=1
	s_and_saveexec_b32 s3, s2
	s_cbranch_execz .LBB18_2
; %bb.18:                               ;   in Loop: Header=BB18_5 Depth=1
	v_add_co_u32 v27, vcc_lo, v27, v6
	s_wait_alu 0xfffd
	v_add_co_ci_u32_e64 v28, null, v28, v7, vcc_lo
	v_add_co_u32 v16, vcc_lo, v16, v24
	s_wait_alu 0xfffd
	v_add_co_ci_u32_e64 v17, null, v17, v25, vcc_lo
	v_dual_mov_b32 v21, v3 :: v_dual_mov_b32 v20, v2
	v_dual_mov_b32 v19, v5 :: v_dual_mov_b32 v18, v4
	s_mov_b32 s22, 0
.LBB18_19:                              ;   Parent Loop BB18_5 Depth=1
                                        ; =>  This Inner Loop Header: Depth=2
	s_delay_alu instid0(VALU_DEP_1) | instskip(NEXT) | instid1(VALU_DEP_2)
	v_mul_lo_u32 v31, v19, v20
	v_mul_lo_u32 v32, v18, v21
	v_mad_co_u64_u32 v[29:30], null, v18, v20, 0
	s_delay_alu instid0(VALU_DEP_1) | instskip(NEXT) | instid1(VALU_DEP_1)
	v_add3_u32 v30, v30, v32, v31
	v_lshlrev_b64_e32 v[29:30], 2, v[29:30]
	s_delay_alu instid0(VALU_DEP_1) | instskip(NEXT) | instid1(VALU_DEP_1)
	v_and_b32_e32 v29, -8, v29
	v_add_co_u32 v29, vcc_lo, v27, v29
	s_wait_alu 0xfffd
	s_delay_alu instid0(VALU_DEP_3)
	v_add_co_ci_u32_e64 v30, null, v28, v30, vcc_lo
	flat_load_b64 v[31:32], v[16:17] offset:-4
	flat_load_b64 v[29:30], v[29:30]
	v_add_co_u32 v20, vcc_lo, v20, 1
	s_wait_alu 0xfffd
	v_add_co_ci_u32_e64 v21, null, 0, v21, vcc_lo
	v_add_co_u32 v18, vcc_lo, v18, 1
	s_wait_alu 0xfffd
	v_add_co_ci_u32_e64 v19, null, 0, v19, vcc_lo
	;; [unrolled: 3-line block ×3, first 2 shown]
	v_cmp_le_i32_e32 vcc_lo, s19, v20
	s_wait_alu 0xfffe
	s_or_b32 s22, vcc_lo, s22
	s_wait_loadcnt_dscnt 0x0
	v_mul_f32_e32 v33, v32, v30
	v_mul_f32_e32 v30, v31, v30
	s_delay_alu instid0(VALU_DEP_2) | instskip(NEXT) | instid1(VALU_DEP_2)
	v_fma_f32 v31, v31, v29, -v33
	v_fmac_f32_e32 v30, v32, v29
	s_delay_alu instid0(VALU_DEP_1)
	v_dual_add_f32 v14, v14, v31 :: v_dual_add_f32 v15, v15, v30
	s_wait_alu 0xfffe
	s_and_not1_b32 exec_lo, exec_lo, s22
	s_cbranch_execnz .LBB18_19
; %bb.20:                               ;   in Loop: Header=BB18_5 Depth=1
	s_or_b32 exec_lo, exec_lo, s22
	s_branch .LBB18_2
.LBB18_21:
	s_endpgm
	.section	.rodata,"a",@progbits
	.p2align	6, 0x0
	.amdhsa_kernel _ZL20rocblas_tpmvn_kernelILi512EPKPK19rocblas_complex_numIfEPKPS1_S6_EvbbiT0_llT1_lllT2_li
		.amdhsa_group_segment_fixed_size 0
		.amdhsa_private_segment_fixed_size 0
		.amdhsa_kernarg_size 344
		.amdhsa_user_sgpr_count 2
		.amdhsa_user_sgpr_dispatch_ptr 0
		.amdhsa_user_sgpr_queue_ptr 0
		.amdhsa_user_sgpr_kernarg_segment_ptr 1
		.amdhsa_user_sgpr_dispatch_id 0
		.amdhsa_user_sgpr_private_segment_size 0
		.amdhsa_wavefront_size32 1
		.amdhsa_uses_dynamic_stack 0
		.amdhsa_enable_private_segment 0
		.amdhsa_system_sgpr_workgroup_id_x 1
		.amdhsa_system_sgpr_workgroup_id_y 0
		.amdhsa_system_sgpr_workgroup_id_z 1
		.amdhsa_system_sgpr_workgroup_info 0
		.amdhsa_system_vgpr_workitem_id 0
		.amdhsa_next_free_vgpr 35
		.amdhsa_next_free_sgpr 38
		.amdhsa_reserve_vcc 1
		.amdhsa_float_round_mode_32 0
		.amdhsa_float_round_mode_16_64 0
		.amdhsa_float_denorm_mode_32 3
		.amdhsa_float_denorm_mode_16_64 3
		.amdhsa_fp16_overflow 0
		.amdhsa_workgroup_processor_mode 1
		.amdhsa_memory_ordered 1
		.amdhsa_forward_progress 1
		.amdhsa_inst_pref_size 12
		.amdhsa_round_robin_scheduling 0
		.amdhsa_exception_fp_ieee_invalid_op 0
		.amdhsa_exception_fp_denorm_src 0
		.amdhsa_exception_fp_ieee_div_zero 0
		.amdhsa_exception_fp_ieee_overflow 0
		.amdhsa_exception_fp_ieee_underflow 0
		.amdhsa_exception_fp_ieee_inexact 0
		.amdhsa_exception_int_div_zero 0
	.end_amdhsa_kernel
	.section	.text._ZL20rocblas_tpmvn_kernelILi512EPKPK19rocblas_complex_numIfEPKPS1_S6_EvbbiT0_llT1_lllT2_li,"axG",@progbits,_ZL20rocblas_tpmvn_kernelILi512EPKPK19rocblas_complex_numIfEPKPS1_S6_EvbbiT0_llT1_lllT2_li,comdat
.Lfunc_end18:
	.size	_ZL20rocblas_tpmvn_kernelILi512EPKPK19rocblas_complex_numIfEPKPS1_S6_EvbbiT0_llT1_lllT2_li, .Lfunc_end18-_ZL20rocblas_tpmvn_kernelILi512EPKPK19rocblas_complex_numIfEPKPS1_S6_EvbbiT0_llT1_lllT2_li
                                        ; -- End function
	.set _ZL20rocblas_tpmvn_kernelILi512EPKPK19rocblas_complex_numIfEPKPS1_S6_EvbbiT0_llT1_lllT2_li.num_vgpr, 35
	.set _ZL20rocblas_tpmvn_kernelILi512EPKPK19rocblas_complex_numIfEPKPS1_S6_EvbbiT0_llT1_lllT2_li.num_agpr, 0
	.set _ZL20rocblas_tpmvn_kernelILi512EPKPK19rocblas_complex_numIfEPKPS1_S6_EvbbiT0_llT1_lllT2_li.numbered_sgpr, 38
	.set _ZL20rocblas_tpmvn_kernelILi512EPKPK19rocblas_complex_numIfEPKPS1_S6_EvbbiT0_llT1_lllT2_li.num_named_barrier, 0
	.set _ZL20rocblas_tpmvn_kernelILi512EPKPK19rocblas_complex_numIfEPKPS1_S6_EvbbiT0_llT1_lllT2_li.private_seg_size, 0
	.set _ZL20rocblas_tpmvn_kernelILi512EPKPK19rocblas_complex_numIfEPKPS1_S6_EvbbiT0_llT1_lllT2_li.uses_vcc, 1
	.set _ZL20rocblas_tpmvn_kernelILi512EPKPK19rocblas_complex_numIfEPKPS1_S6_EvbbiT0_llT1_lllT2_li.uses_flat_scratch, 0
	.set _ZL20rocblas_tpmvn_kernelILi512EPKPK19rocblas_complex_numIfEPKPS1_S6_EvbbiT0_llT1_lllT2_li.has_dyn_sized_stack, 0
	.set _ZL20rocblas_tpmvn_kernelILi512EPKPK19rocblas_complex_numIfEPKPS1_S6_EvbbiT0_llT1_lllT2_li.has_recursion, 0
	.set _ZL20rocblas_tpmvn_kernelILi512EPKPK19rocblas_complex_numIfEPKPS1_S6_EvbbiT0_llT1_lllT2_li.has_indirect_call, 0
	.section	.AMDGPU.csdata,"",@progbits
; Kernel info:
; codeLenInByte = 1496
; TotalNumSgprs: 40
; NumVgprs: 35
; ScratchSize: 0
; MemoryBound: 0
; FloatMode: 240
; IeeeMode: 1
; LDSByteSize: 0 bytes/workgroup (compile time only)
; SGPRBlocks: 0
; VGPRBlocks: 4
; NumSGPRsForWavesPerEU: 40
; NumVGPRsForWavesPerEU: 35
; Occupancy: 16
; WaveLimiterHint : 1
; COMPUTE_PGM_RSRC2:SCRATCH_EN: 0
; COMPUTE_PGM_RSRC2:USER_SGPR: 2
; COMPUTE_PGM_RSRC2:TRAP_HANDLER: 0
; COMPUTE_PGM_RSRC2:TGID_X_EN: 1
; COMPUTE_PGM_RSRC2:TGID_Y_EN: 0
; COMPUTE_PGM_RSRC2:TGID_Z_EN: 1
; COMPUTE_PGM_RSRC2:TIDIG_COMP_CNT: 0
	.section	.text._ZL20rocblas_tpmvt_kernelILi512EPKPK19rocblas_complex_numIfEPKPS1_S6_EvbbiT0_llT1_lllT2_li,"axG",@progbits,_ZL20rocblas_tpmvt_kernelILi512EPKPK19rocblas_complex_numIfEPKPS1_S6_EvbbiT0_llT1_lllT2_li,comdat
	.globl	_ZL20rocblas_tpmvt_kernelILi512EPKPK19rocblas_complex_numIfEPKPS1_S6_EvbbiT0_llT1_lllT2_li ; -- Begin function _ZL20rocblas_tpmvt_kernelILi512EPKPK19rocblas_complex_numIfEPKPS1_S6_EvbbiT0_llT1_lllT2_li
	.p2align	8
	.type	_ZL20rocblas_tpmvt_kernelILi512EPKPK19rocblas_complex_numIfEPKPS1_S6_EvbbiT0_llT1_lllT2_li,@function
_ZL20rocblas_tpmvt_kernelILi512EPKPK19rocblas_complex_numIfEPKPS1_S6_EvbbiT0_llT1_lllT2_li: ; @_ZL20rocblas_tpmvt_kernelILi512EPKPK19rocblas_complex_numIfEPKPS1_S6_EvbbiT0_llT1_lllT2_li
; %bb.0:
	s_load_b32 s22, s[0:1], 0x50
	s_lshr_b32 s16, ttmp7, 16
	s_wait_kmcnt 0x0
	s_cmp_ge_u32 s16, s22
	s_cbranch_scc1 .LBB19_21
; %bb.1:
	s_clause 0x6
	s_load_b32 s2, s[0:1], 0x0
	s_load_b64 s[18:19], s[0:1], 0x0
	s_load_b32 s3, s[0:1], 0x64
	s_load_b128 s[4:7], s[0:1], 0x8
	s_load_b64 s[20:21], s[0:1], 0x30
	s_load_b128 s[8:11], s[0:1], 0x20
	s_load_b128 s[12:15], s[0:1], 0x40
	v_mov_b32_e32 v28, 0
	s_mov_b32 s17, 0
	s_wait_kmcnt 0x0
	s_bitcmp1_b32 s2, 0
	s_mov_b32 s0, s19
	s_cselect_b32 s2, -1, 0
	s_delay_alu instid0(SALU_CYCLE_1)
	s_xor_b32 s23, s2, -1
	s_bitcmp1_b32 s18, 8
	s_cselect_b32 s18, -1, 0
	s_and_b32 s2, s3, 0xffff
	s_ashr_i32 s1, s19, 31
	v_mad_co_u64_u32 v[0:1], null, ttmp9, s2, v[0:1]
	s_lshl_b64 s[0:1], s[0:1], 3
	s_lshl_b64 s[6:7], s[6:7], 3
	s_wait_alu 0xfffe
	s_add_nc_u64 s[24:25], s[0:1], -8
	s_lshl_b64 s[10:11], s[10:11], 3
	s_xor_b32 s18, s18, -1
	v_ashrrev_i32_e32 v1, 31, v0
	v_add_nc_u32_e32 v2, 1, v0
	v_add_co_u32 v3, vcc_lo, v0, -1
	v_mad_co_i64_i32 v[8:9], null, v0, s19, 0
	s_delay_alu instid0(VALU_DEP_4) | instskip(NEXT) | instid1(VALU_DEP_4)
	v_add_co_ci_u32_e64 v4, null, -1, v1, vcc_lo
	v_mad_co_u64_u32 v[14:15], null, v2, v0, 0
	s_delay_alu instid0(VALU_DEP_4) | instskip(SKIP_1) | instid1(VALU_DEP_4)
	v_mul_lo_u32 v5, v3, v1
	v_mad_co_u64_u32 v[12:13], null, v3, v0, 0
	v_mul_lo_u32 v20, v4, v0
	v_mul_lo_u32 v22, s21, v0
	v_mad_co_u64_u32 v[6:7], null, s20, v0, 0
	v_mov_b32_e32 v4, v15
	v_mul_lo_u32 v24, s20, v1
	v_mul_lo_u32 v23, s25, v0
	v_mad_co_u64_u32 v[10:11], null, s24, v0, s[6:7]
	v_add3_u32 v13, v13, v5, v20
	v_mad_co_u64_u32 v[20:21], null, v2, v1, v[4:5]
	v_lshlrev_b64_e32 v[4:5], 3, v[0:1]
	v_add3_u32 v7, v7, v24, v22
	s_delay_alu instid0(VALU_DEP_4)
	v_lshrrev_b64 v[12:13], 1, v[12:13]
	v_cmp_gt_i32_e64 s0, s19, v0
	v_cmp_lt_i32_e64 s1, 0, v0
	v_cndmask_b32_e64 v29, 0, 1, s18
	v_mov_b32_e32 v15, v20
	v_ashrrev_i32_e32 v3, 31, v2
	v_mul_lo_u32 v25, s21, v2
	v_mad_co_u64_u32 v[16:17], null, s20, v2, 0
	v_sub_co_u32 v8, vcc_lo, v8, v12
	s_delay_alu instid0(VALU_DEP_4)
	v_mul_lo_u32 v26, s20, v3
	v_mad_co_i64_i32 v[18:19], null, v2, v0, 0
	s_wait_alu 0xfffd
	v_sub_co_ci_u32_e64 v9, null, v9, v13, vcc_lo
	v_lshlrev_b64_e32 v[20:21], 3, v[2:3]
	v_lshrrev_b64 v[14:15], 1, v[14:15]
	v_lshlrev_b64_e32 v[6:7], 3, v[6:7]
	v_add3_u32 v17, v17, v26, v25
	v_mul_lo_u32 v25, s24, v1
	v_add_co_u32 v1, vcc_lo, s12, v4
	s_wait_alu 0xfffd
	v_add_co_ci_u32_e64 v24, null, s13, v5, vcc_lo
	v_lshlrev_b64_e32 v[16:17], 3, v[16:17]
	v_lshrrev_b64 v[18:19], 1, v[18:19]
	v_lshlrev_b64_e32 v[8:9], 3, v[8:9]
	v_cmp_gt_i32_e64 s2, s19, v2
	s_lshl_b64 s[12:13], s[20:21], 3
	s_or_b32 s20, s10, 4
	v_add_co_u32 v16, vcc_lo, v16, s10
	s_wait_alu 0xfffd
	v_add_co_ci_u32_e64 v3, null, s11, v17, vcc_lo
	v_add3_u32 v17, v23, v11, v25
	v_lshlrev_b64_e32 v[11:12], 3, v[12:13]
	v_add_co_u32 v10, vcc_lo, v10, v20
	v_or_b32_e32 v25, 4, v16
	s_wait_alu 0xfffd
	v_add_co_ci_u32_e64 v13, null, v17, v21, vcc_lo
	s_delay_alu instid0(VALU_DEP_3) | instskip(SKIP_2) | instid1(VALU_DEP_3)
	v_sub_co_u32 v26, vcc_lo, v10, v11
	v_lshlrev_b64_e32 v[10:11], 3, v[18:19]
	s_wait_alu 0xfffd
	v_sub_co_ci_u32_e64 v27, null, v13, v12, vcc_lo
	v_lshlrev_b64_e32 v[12:13], 3, v[14:15]
	s_mov_b32 s21, s11
	s_branch .LBB19_5
.LBB19_2:                               ;   in Loop: Header=BB19_5 Depth=1
	s_wait_alu 0xfffe
	s_or_b32 exec_lo, exec_lo, s25
	s_wait_loadcnt_dscnt 0x0
	v_dual_mov_b32 v19, v15 :: v_dual_mov_b32 v18, v14
.LBB19_3:                               ;   in Loop: Header=BB19_5 Depth=1
	s_mul_u64 s[26:27], s[14:15], s[16:17]
	s_wait_alu 0xfffe
	s_lshl_b64 s[26:27], s[26:27], 3
	s_wait_loadcnt_dscnt 0x0
	s_wait_alu 0xfffe
	v_add_co_u32 v14, vcc_lo, v1, s26
	s_wait_alu 0xfffd
	v_add_co_ci_u32_e64 v15, null, s27, v24, vcc_lo
	global_store_b64 v[14:15], v[18:19], off
.LBB19_4:                               ;   in Loop: Header=BB19_5 Depth=1
	s_wait_alu 0xfffe
	s_or_b32 exec_lo, exec_lo, s24
	s_add_co_i32 s16, s16, 0x10000
	s_delay_alu instid0(SALU_CYCLE_1)
	s_cmp_lt_u32 s16, s22
	s_cbranch_scc0 .LBB19_21
.LBB19_5:                               ; =>This Loop Header: Depth=1
                                        ;     Child Loop BB19_11 Depth 2
                                        ;     Child Loop BB19_19 Depth 2
	s_and_saveexec_b32 s24, s0
	s_cbranch_execz .LBB19_4
; %bb.6:                                ;   in Loop: Header=BB19_5 Depth=1
	s_lshl_b64 s[26:27], s[16:17], 3
	v_cmp_ne_u32_e64 s3, 1, v29
	s_wait_alu 0xfffe
	s_add_nc_u64 s[28:29], s[8:9], s[26:27]
	s_add_nc_u64 s[26:27], s[4:5], s[26:27]
	s_clause 0x1
	global_load_b64 v[16:17], v28, s[28:29]
	global_load_b64 v[22:23], v28, s[26:27]
	s_mov_b32 s25, -1
                                        ; implicit-def: $vgpr19
	s_wait_loadcnt 0x1
	v_add_co_u32 v14, vcc_lo, v16, s10
	s_wait_alu 0xfffd
	v_add_co_ci_u32_e64 v15, null, s11, v17, vcc_lo
	s_delay_alu instid0(VALU_DEP_2) | instskip(SKIP_1) | instid1(VALU_DEP_2)
	v_add_co_u32 v14, vcc_lo, v14, v6
	s_wait_alu 0xfffd
	v_add_co_ci_u32_e64 v15, null, v15, v7, vcc_lo
	s_wait_loadcnt 0x0
	v_add_co_u32 v30, vcc_lo, v22, s6
	s_wait_alu 0xfffd
	v_add_co_ci_u32_e64 v31, null, s7, v23, vcc_lo
	flat_load_b64 v[14:15], v[14:15]
	s_and_b32 vcc_lo, exec_lo, s23
	s_wait_alu 0xfffe
	s_cbranch_vccz .LBB19_14
; %bb.7:                                ;   in Loop: Header=BB19_5 Depth=1
	s_wait_loadcnt_dscnt 0x0
	v_dual_mov_b32 v18, v14 :: v_dual_mov_b32 v19, v15
	s_and_b32 vcc_lo, exec_lo, s3
	s_wait_alu 0xfffe
	s_cbranch_vccnz .LBB19_9
; %bb.8:                                ;   in Loop: Header=BB19_5 Depth=1
	v_add_co_u32 v18, vcc_lo, v30, v8
	s_wait_alu 0xfffd
	v_add_co_ci_u32_e64 v19, null, v31, v9, vcc_lo
	flat_load_b64 v[20:21], v[18:19]
	s_wait_loadcnt_dscnt 0x0
	v_mul_f32_e32 v18, v15, v21
	v_mul_f32_e32 v19, v14, v21
	s_delay_alu instid0(VALU_DEP_2) | instskip(NEXT) | instid1(VALU_DEP_2)
	v_fma_f32 v18, v14, v20, -v18
	v_fmac_f32_e32 v19, v15, v20
.LBB19_9:                               ;   in Loop: Header=BB19_5 Depth=1
	s_and_saveexec_b32 s25, s2
	s_cbranch_execz .LBB19_13
; %bb.10:                               ;   in Loop: Header=BB19_5 Depth=1
	v_add_co_u32 v20, vcc_lo, v16, v25
	s_wait_alu 0xfffd
	v_add_co_ci_u32_e64 v21, null, v17, v3, vcc_lo
	v_add_co_u32 v22, vcc_lo, v22, v26
	s_wait_alu 0xfffd
	v_add_co_ci_u32_e64 v23, null, v23, v27, vcc_lo
	v_mov_b32_e32 v32, v2
	s_mov_b32 s26, 0
.LBB19_11:                              ;   Parent Loop BB19_5 Depth=1
                                        ; =>  This Inner Loop Header: Depth=2
	flat_load_b64 v[33:34], v[22:23]
	flat_load_b64 v[35:36], v[20:21] offset:-4
	v_add_nc_u32_e32 v32, 1, v32
	v_add_co_u32 v20, vcc_lo, v20, s12
	s_wait_alu 0xfffd
	v_add_co_ci_u32_e64 v21, null, s13, v21, vcc_lo
	v_add_co_u32 v22, vcc_lo, v22, 8
	s_wait_alu 0xfffd
	v_add_co_ci_u32_e64 v23, null, 0, v23, vcc_lo
	s_wait_loadcnt_dscnt 0x0
	v_mul_f32_e32 v37, v36, v34
	v_mul_f32_e32 v34, v35, v34
	v_cmp_le_i32_e64 s3, s19, v32
	s_delay_alu instid0(VALU_DEP_3) | instskip(NEXT) | instid1(VALU_DEP_3)
	v_fma_f32 v35, v35, v33, -v37
	v_fmac_f32_e32 v34, v36, v33
	s_wait_alu 0xfffe
	s_or_b32 s26, s3, s26
	s_delay_alu instid0(VALU_DEP_1)
	v_dual_add_f32 v18, v18, v35 :: v_dual_add_f32 v19, v19, v34
	s_wait_alu 0xfffe
	s_and_not1_b32 exec_lo, exec_lo, s26
	s_cbranch_execnz .LBB19_11
; %bb.12:                               ;   in Loop: Header=BB19_5 Depth=1
	s_or_b32 exec_lo, exec_lo, s26
.LBB19_13:                              ;   in Loop: Header=BB19_5 Depth=1
	s_wait_alu 0xfffe
	s_or_b32 exec_lo, exec_lo, s25
	s_mov_b32 s25, 0
.LBB19_14:                              ;   in Loop: Header=BB19_5 Depth=1
	s_wait_alu 0xfffe
	s_and_b32 vcc_lo, exec_lo, s25
	s_wait_alu 0xfffe
	s_cbranch_vccz .LBB19_3
; %bb.15:                               ;   in Loop: Header=BB19_5 Depth=1
	s_and_not1_b32 vcc_lo, exec_lo, s18
	s_wait_alu 0xfffe
	s_cbranch_vccnz .LBB19_17
; %bb.16:                               ;   in Loop: Header=BB19_5 Depth=1
	v_add_co_u32 v18, vcc_lo, v30, v10
	s_wait_alu 0xfffd
	v_add_co_ci_u32_e64 v19, null, v31, v11, vcc_lo
	s_delay_alu instid0(VALU_DEP_2) | instskip(SKIP_1) | instid1(VALU_DEP_2)
	v_add_co_u32 v18, vcc_lo, v18, v4
	s_wait_alu 0xfffd
	v_add_co_ci_u32_e64 v19, null, v19, v5, vcc_lo
	flat_load_b64 v[18:19], v[18:19]
	s_wait_loadcnt_dscnt 0x0
	v_mul_f32_e32 v20, v15, v19
	v_mul_f32_e32 v19, v14, v19
	s_delay_alu instid0(VALU_DEP_2) | instskip(NEXT) | instid1(VALU_DEP_2)
	v_fma_f32 v14, v14, v18, -v20
	v_fmac_f32_e32 v19, v15, v18
	s_delay_alu instid0(VALU_DEP_1)
	v_mov_b32_e32 v15, v19
.LBB19_17:                              ;   in Loop: Header=BB19_5 Depth=1
	s_and_saveexec_b32 s25, s1
	s_cbranch_execz .LBB19_2
; %bb.18:                               ;   in Loop: Header=BB19_5 Depth=1
	v_add_co_u32 v18, vcc_lo, v30, v12
	s_wait_alu 0xfffd
	v_add_co_ci_u32_e64 v19, null, v31, v13, vcc_lo
	v_add_co_u32 v16, vcc_lo, v16, s20
	s_wait_alu 0xfffd
	v_add_co_ci_u32_e64 v17, null, s21, v17, vcc_lo
	v_mov_b32_e32 v20, v0
	s_mov_b32 s26, 0
.LBB19_19:                              ;   Parent Loop BB19_5 Depth=1
                                        ; =>  This Inner Loop Header: Depth=2
	flat_load_b64 v[21:22], v[18:19]
	flat_load_b64 v[30:31], v[16:17] offset:-4
	v_add_nc_u32_e32 v20, -1, v20
	v_add_co_u32 v16, vcc_lo, v16, s12
	s_wait_alu 0xfffd
	v_add_co_ci_u32_e64 v17, null, s13, v17, vcc_lo
	v_add_co_u32 v18, vcc_lo, v18, 8
	s_wait_alu 0xfffd
	v_add_co_ci_u32_e64 v19, null, 0, v19, vcc_lo
	s_wait_loadcnt_dscnt 0x0
	v_mul_f32_e32 v23, v31, v22
	v_mul_f32_e32 v22, v30, v22
	v_cmp_eq_u32_e64 s3, 0, v20
	s_delay_alu instid0(VALU_DEP_3) | instskip(NEXT) | instid1(VALU_DEP_3)
	v_fma_f32 v23, v30, v21, -v23
	v_fmac_f32_e32 v22, v31, v21
	s_wait_alu 0xfffe
	s_or_b32 s26, s3, s26
	s_delay_alu instid0(VALU_DEP_1)
	v_dual_add_f32 v14, v14, v23 :: v_dual_add_f32 v15, v15, v22
	s_wait_alu 0xfffe
	s_and_not1_b32 exec_lo, exec_lo, s26
	s_cbranch_execnz .LBB19_19
; %bb.20:                               ;   in Loop: Header=BB19_5 Depth=1
	s_or_b32 exec_lo, exec_lo, s26
	s_branch .LBB19_2
.LBB19_21:
	s_endpgm
	.section	.rodata,"a",@progbits
	.p2align	6, 0x0
	.amdhsa_kernel _ZL20rocblas_tpmvt_kernelILi512EPKPK19rocblas_complex_numIfEPKPS1_S6_EvbbiT0_llT1_lllT2_li
		.amdhsa_group_segment_fixed_size 0
		.amdhsa_private_segment_fixed_size 0
		.amdhsa_kernarg_size 344
		.amdhsa_user_sgpr_count 2
		.amdhsa_user_sgpr_dispatch_ptr 0
		.amdhsa_user_sgpr_queue_ptr 0
		.amdhsa_user_sgpr_kernarg_segment_ptr 1
		.amdhsa_user_sgpr_dispatch_id 0
		.amdhsa_user_sgpr_private_segment_size 0
		.amdhsa_wavefront_size32 1
		.amdhsa_uses_dynamic_stack 0
		.amdhsa_enable_private_segment 0
		.amdhsa_system_sgpr_workgroup_id_x 1
		.amdhsa_system_sgpr_workgroup_id_y 0
		.amdhsa_system_sgpr_workgroup_id_z 1
		.amdhsa_system_sgpr_workgroup_info 0
		.amdhsa_system_vgpr_workitem_id 0
		.amdhsa_next_free_vgpr 38
		.amdhsa_next_free_sgpr 30
		.amdhsa_reserve_vcc 1
		.amdhsa_float_round_mode_32 0
		.amdhsa_float_round_mode_16_64 0
		.amdhsa_float_denorm_mode_32 3
		.amdhsa_float_denorm_mode_16_64 3
		.amdhsa_fp16_overflow 0
		.amdhsa_workgroup_processor_mode 1
		.amdhsa_memory_ordered 1
		.amdhsa_forward_progress 1
		.amdhsa_inst_pref_size 12
		.amdhsa_round_robin_scheduling 0
		.amdhsa_exception_fp_ieee_invalid_op 0
		.amdhsa_exception_fp_denorm_src 0
		.amdhsa_exception_fp_ieee_div_zero 0
		.amdhsa_exception_fp_ieee_overflow 0
		.amdhsa_exception_fp_ieee_underflow 0
		.amdhsa_exception_fp_ieee_inexact 0
		.amdhsa_exception_int_div_zero 0
	.end_amdhsa_kernel
	.section	.text._ZL20rocblas_tpmvt_kernelILi512EPKPK19rocblas_complex_numIfEPKPS1_S6_EvbbiT0_llT1_lllT2_li,"axG",@progbits,_ZL20rocblas_tpmvt_kernelILi512EPKPK19rocblas_complex_numIfEPKPS1_S6_EvbbiT0_llT1_lllT2_li,comdat
.Lfunc_end19:
	.size	_ZL20rocblas_tpmvt_kernelILi512EPKPK19rocblas_complex_numIfEPKPS1_S6_EvbbiT0_llT1_lllT2_li, .Lfunc_end19-_ZL20rocblas_tpmvt_kernelILi512EPKPK19rocblas_complex_numIfEPKPS1_S6_EvbbiT0_llT1_lllT2_li
                                        ; -- End function
	.set _ZL20rocblas_tpmvt_kernelILi512EPKPK19rocblas_complex_numIfEPKPS1_S6_EvbbiT0_llT1_lllT2_li.num_vgpr, 38
	.set _ZL20rocblas_tpmvt_kernelILi512EPKPK19rocblas_complex_numIfEPKPS1_S6_EvbbiT0_llT1_lllT2_li.num_agpr, 0
	.set _ZL20rocblas_tpmvt_kernelILi512EPKPK19rocblas_complex_numIfEPKPS1_S6_EvbbiT0_llT1_lllT2_li.numbered_sgpr, 30
	.set _ZL20rocblas_tpmvt_kernelILi512EPKPK19rocblas_complex_numIfEPKPS1_S6_EvbbiT0_llT1_lllT2_li.num_named_barrier, 0
	.set _ZL20rocblas_tpmvt_kernelILi512EPKPK19rocblas_complex_numIfEPKPS1_S6_EvbbiT0_llT1_lllT2_li.private_seg_size, 0
	.set _ZL20rocblas_tpmvt_kernelILi512EPKPK19rocblas_complex_numIfEPKPS1_S6_EvbbiT0_llT1_lllT2_li.uses_vcc, 1
	.set _ZL20rocblas_tpmvt_kernelILi512EPKPK19rocblas_complex_numIfEPKPS1_S6_EvbbiT0_llT1_lllT2_li.uses_flat_scratch, 0
	.set _ZL20rocblas_tpmvt_kernelILi512EPKPK19rocblas_complex_numIfEPKPS1_S6_EvbbiT0_llT1_lllT2_li.has_dyn_sized_stack, 0
	.set _ZL20rocblas_tpmvt_kernelILi512EPKPK19rocblas_complex_numIfEPKPS1_S6_EvbbiT0_llT1_lllT2_li.has_recursion, 0
	.set _ZL20rocblas_tpmvt_kernelILi512EPKPK19rocblas_complex_numIfEPKPS1_S6_EvbbiT0_llT1_lllT2_li.has_indirect_call, 0
	.section	.AMDGPU.csdata,"",@progbits
; Kernel info:
; codeLenInByte = 1468
; TotalNumSgprs: 32
; NumVgprs: 38
; ScratchSize: 0
; MemoryBound: 0
; FloatMode: 240
; IeeeMode: 1
; LDSByteSize: 0 bytes/workgroup (compile time only)
; SGPRBlocks: 0
; VGPRBlocks: 4
; NumSGPRsForWavesPerEU: 32
; NumVGPRsForWavesPerEU: 38
; Occupancy: 16
; WaveLimiterHint : 1
; COMPUTE_PGM_RSRC2:SCRATCH_EN: 0
; COMPUTE_PGM_RSRC2:USER_SGPR: 2
; COMPUTE_PGM_RSRC2:TRAP_HANDLER: 0
; COMPUTE_PGM_RSRC2:TGID_X_EN: 1
; COMPUTE_PGM_RSRC2:TGID_Y_EN: 0
; COMPUTE_PGM_RSRC2:TGID_Z_EN: 1
; COMPUTE_PGM_RSRC2:TIDIG_COMP_CNT: 0
	.section	.text._ZL20rocblas_tpmvc_kernelILi512EPKPK19rocblas_complex_numIfEPKPS1_S6_EvbbiT0_llT1_lllT2_li,"axG",@progbits,_ZL20rocblas_tpmvc_kernelILi512EPKPK19rocblas_complex_numIfEPKPS1_S6_EvbbiT0_llT1_lllT2_li,comdat
	.globl	_ZL20rocblas_tpmvc_kernelILi512EPKPK19rocblas_complex_numIfEPKPS1_S6_EvbbiT0_llT1_lllT2_li ; -- Begin function _ZL20rocblas_tpmvc_kernelILi512EPKPK19rocblas_complex_numIfEPKPS1_S6_EvbbiT0_llT1_lllT2_li
	.p2align	8
	.type	_ZL20rocblas_tpmvc_kernelILi512EPKPK19rocblas_complex_numIfEPKPS1_S6_EvbbiT0_llT1_lllT2_li,@function
_ZL20rocblas_tpmvc_kernelILi512EPKPK19rocblas_complex_numIfEPKPS1_S6_EvbbiT0_llT1_lllT2_li: ; @_ZL20rocblas_tpmvc_kernelILi512EPKPK19rocblas_complex_numIfEPKPS1_S6_EvbbiT0_llT1_lllT2_li
; %bb.0:
	s_load_b32 s22, s[0:1], 0x50
	s_lshr_b32 s16, ttmp7, 16
	s_wait_kmcnt 0x0
	s_cmp_ge_u32 s16, s22
	s_cbranch_scc1 .LBB20_21
; %bb.1:
	s_clause 0x6
	s_load_b32 s2, s[0:1], 0x0
	s_load_b64 s[18:19], s[0:1], 0x0
	s_load_b32 s3, s[0:1], 0x64
	s_load_b128 s[4:7], s[0:1], 0x8
	s_load_b64 s[20:21], s[0:1], 0x30
	s_load_b128 s[8:11], s[0:1], 0x20
	s_load_b128 s[12:15], s[0:1], 0x40
	v_mov_b32_e32 v30, 0
	s_mov_b32 s17, 0
	s_wait_kmcnt 0x0
	s_bitcmp1_b32 s2, 0
	s_mov_b32 s0, s19
	s_cselect_b32 s2, -1, 0
	s_delay_alu instid0(SALU_CYCLE_1)
	s_xor_b32 s23, s2, -1
	s_bitcmp1_b32 s18, 8
	s_cselect_b32 s18, -1, 0
	s_and_b32 s2, s3, 0xffff
	s_ashr_i32 s1, s19, 31
	v_mad_co_u64_u32 v[0:1], null, ttmp9, s2, v[0:1]
	s_lshl_b64 s[0:1], s[0:1], 3
	s_lshl_b64 s[6:7], s[6:7], 3
	s_wait_alu 0xfffe
	s_add_nc_u64 s[24:25], s[0:1], -8
	s_lshl_b64 s[10:11], s[10:11], 3
	s_xor_b32 s18, s18, -1
	v_ashrrev_i32_e32 v1, 31, v0
	v_add_co_u32 v3, vcc_lo, v0, -1
	v_add_nc_u32_e32 v2, 1, v0
	v_mad_co_u64_u32 v[5:6], null, s20, v0, 0
	s_delay_alu instid0(VALU_DEP_4) | instskip(NEXT) | instid1(VALU_DEP_3)
	v_add_co_ci_u32_e64 v4, null, -1, v1, vcc_lo
	v_mad_co_u64_u32 v[11:12], null, v2, v0, 0
	v_mul_lo_u32 v17, v3, v1
	v_mad_co_u64_u32 v[13:14], null, v3, v0, 0
	s_delay_alu instid0(VALU_DEP_4)
	v_mul_lo_u32 v18, v4, v0
	v_ashrrev_i32_e32 v3, 31, v2
	v_mul_lo_u32 v20, s21, v0
	v_mov_b32_e32 v4, v12
	v_mad_co_i64_i32 v[7:8], null, v0, s19, 0
	v_mul_lo_u32 v21, s25, v0
	v_mad_co_u64_u32 v[9:10], null, s24, v0, s[6:7]
	v_add3_u32 v14, v14, v17, v18
	v_mul_lo_u32 v22, s20, v1
	v_mul_lo_u32 v12, s24, v1
	v_mad_co_i64_i32 v[15:16], null, v2, v0, 0
	v_mad_co_u64_u32 v[17:18], null, v2, v1, v[4:5]
	v_lshlrev_b64_e32 v[18:19], 3, v[2:3]
	v_mul_lo_u32 v24, s20, v3
	v_lshrrev_b64 v[3:4], 1, v[13:14]
	v_mul_lo_u32 v23, s21, v2
	v_add3_u32 v6, v6, v22, v20
	v_add3_u32 v10, v21, v10, v12
	v_mad_co_u64_u32 v[20:21], null, s20, v2, 0
	v_sub_co_u32 v7, vcc_lo, v7, v3
	v_lshrrev_b64 v[13:14], 1, v[15:16]
	v_lshlrev_b64_e32 v[15:16], 3, v[3:4]
	v_mov_b32_e32 v12, v17
	s_wait_alu 0xfffd
	v_sub_co_ci_u32_e64 v8, null, v8, v4, vcc_lo
	v_add_co_u32 v9, vcc_lo, v9, v18
	s_wait_alu 0xfffd
	v_add_co_ci_u32_e64 v17, null, v10, v19, vcc_lo
	v_add3_u32 v21, v21, v24, v23
	s_delay_alu instid0(VALU_DEP_3) | instskip(SKIP_2) | instid1(VALU_DEP_4)
	v_sub_co_u32 v15, vcc_lo, v9, v15
	v_lshlrev_b64_e32 v[9:10], 2, v[11:12]
	v_lshlrev_b64_e32 v[3:4], 3, v[0:1]
	;; [unrolled: 1-line block ×3, first 2 shown]
	s_wait_alu 0xfffd
	v_sub_co_ci_u32_e64 v24, null, v17, v16, vcc_lo
	v_lshlrev_b64_e32 v[5:6], 3, v[5:6]
	v_and_b32_e32 v9, -8, v9
	v_add_co_u32 v1, s3, s12, v3
	s_wait_alu 0xf1ff
	v_add_co_ci_u32_e64 v23, null, s13, v4, s3
	s_delay_alu instid0(VALU_DEP_3) | instskip(SKIP_3) | instid1(VALU_DEP_3)
	v_add_co_u32 v9, s3, s6, v9
	v_add_co_u32 v11, vcc_lo, v11, s10
	s_wait_alu 0xf1ff
	v_add_co_ci_u32_e64 v28, null, s7, v10, s3
	v_or_b32_e32 v29, 4, v9
	v_lshlrev_b64_e32 v[7:8], 3, v[7:8]
	v_lshlrev_b64_e32 v[9:10], 3, v[13:14]
	v_cmp_gt_i32_e64 s0, s19, v0
	v_cmp_lt_i32_e64 s1, 0, v0
	v_cmp_gt_i32_e64 s2, s19, v2
	v_or_b32_e32 v25, 4, v15
	s_wait_alu 0xfffd
	v_add_co_ci_u32_e64 v26, null, s11, v12, vcc_lo
	v_or_b32_e32 v27, 4, v11
	v_cndmask_b32_e64 v31, 0, 1, s18
	s_lshl_b64 s[12:13], s[20:21], 3
	s_or_b32 s20, s10, 4
	s_mov_b32 s21, s11
	s_branch .LBB20_5
.LBB20_2:                               ;   in Loop: Header=BB20_5 Depth=1
	s_wait_alu 0xfffe
	s_or_b32 exec_lo, exec_lo, s25
	s_wait_loadcnt_dscnt 0x0
	v_dual_mov_b32 v18, v12 :: v_dual_mov_b32 v17, v11
.LBB20_3:                               ;   in Loop: Header=BB20_5 Depth=1
	s_mul_u64 s[26:27], s[14:15], s[16:17]
	s_wait_alu 0xfffe
	s_lshl_b64 s[26:27], s[26:27], 3
	s_wait_loadcnt_dscnt 0x0
	s_wait_alu 0xfffe
	v_add_co_u32 v11, vcc_lo, v1, s26
	s_wait_alu 0xfffd
	v_add_co_ci_u32_e64 v12, null, s27, v23, vcc_lo
	global_store_b64 v[11:12], v[17:18], off
.LBB20_4:                               ;   in Loop: Header=BB20_5 Depth=1
	s_wait_alu 0xfffe
	s_or_b32 exec_lo, exec_lo, s24
	s_add_co_i32 s16, s16, 0x10000
	s_delay_alu instid0(SALU_CYCLE_1)
	s_cmp_lt_u32 s16, s22
	s_cbranch_scc0 .LBB20_21
.LBB20_5:                               ; =>This Loop Header: Depth=1
                                        ;     Child Loop BB20_11 Depth 2
                                        ;     Child Loop BB20_19 Depth 2
	s_and_saveexec_b32 s24, s0
	s_cbranch_execz .LBB20_4
; %bb.6:                                ;   in Loop: Header=BB20_5 Depth=1
	s_lshl_b64 s[26:27], s[16:17], 3
	v_cmp_ne_u32_e64 s3, 1, v31
	s_wait_alu 0xfffe
	s_add_nc_u64 s[28:29], s[8:9], s[26:27]
	s_add_nc_u64 s[26:27], s[4:5], s[26:27]
	s_clause 0x1
	global_load_b64 v[15:16], v30, s[28:29]
	global_load_b64 v[13:14], v30, s[26:27]
	s_mov_b32 s25, -1
                                        ; implicit-def: $vgpr18
	s_wait_loadcnt 0x1
	v_add_co_u32 v11, vcc_lo, v15, s10
	s_wait_alu 0xfffd
	v_add_co_ci_u32_e64 v12, null, s11, v16, vcc_lo
	s_delay_alu instid0(VALU_DEP_2) | instskip(SKIP_1) | instid1(VALU_DEP_2)
	v_add_co_u32 v11, vcc_lo, v11, v5
	s_wait_alu 0xfffd
	v_add_co_ci_u32_e64 v12, null, v12, v6, vcc_lo
	s_wait_loadcnt 0x0
	v_add_co_u32 v32, vcc_lo, v13, s6
	s_wait_alu 0xfffd
	v_add_co_ci_u32_e64 v33, null, s7, v14, vcc_lo
	flat_load_b64 v[11:12], v[11:12]
	s_and_b32 vcc_lo, exec_lo, s23
	s_wait_alu 0xfffe
	s_cbranch_vccz .LBB20_14
; %bb.7:                                ;   in Loop: Header=BB20_5 Depth=1
	s_wait_loadcnt_dscnt 0x0
	v_dual_mov_b32 v17, v11 :: v_dual_mov_b32 v18, v12
	s_and_b32 vcc_lo, exec_lo, s3
	s_wait_alu 0xfffe
	s_cbranch_vccnz .LBB20_9
; %bb.8:                                ;   in Loop: Header=BB20_5 Depth=1
	v_add_co_u32 v17, vcc_lo, v32, v7
	s_wait_alu 0xfffd
	v_add_co_ci_u32_e64 v18, null, v33, v8, vcc_lo
	flat_load_b64 v[18:19], v[17:18]
	s_wait_loadcnt_dscnt 0x0
	v_mul_f32_e32 v17, v12, v19
	v_mul_f32_e32 v19, v11, v19
	s_delay_alu instid0(VALU_DEP_2) | instskip(NEXT) | instid1(VALU_DEP_2)
	v_fmac_f32_e32 v17, v11, v18
	v_fma_f32 v18, v12, v18, -v19
.LBB20_9:                               ;   in Loop: Header=BB20_5 Depth=1
	s_and_saveexec_b32 s25, s2
	s_cbranch_execz .LBB20_13
; %bb.10:                               ;   in Loop: Header=BB20_5 Depth=1
	v_add_co_u32 v19, vcc_lo, v13, v25
	s_wait_alu 0xfffd
	v_add_co_ci_u32_e64 v20, null, v14, v24, vcc_lo
	v_add_co_u32 v21, vcc_lo, v15, v27
	s_wait_alu 0xfffd
	v_add_co_ci_u32_e64 v22, null, v16, v26, vcc_lo
	v_mov_b32_e32 v34, v2
	s_mov_b32 s26, 0
.LBB20_11:                              ;   Parent Loop BB20_5 Depth=1
                                        ; =>  This Inner Loop Header: Depth=2
	flat_load_b64 v[35:36], v[19:20] offset:-4
	flat_load_b64 v[37:38], v[21:22] offset:-4
	v_add_co_u32 v19, vcc_lo, v19, 8
	s_wait_alu 0xfffd
	v_add_co_ci_u32_e64 v20, null, 0, v20, vcc_lo
	v_add_co_u32 v21, vcc_lo, v21, s12
	s_wait_alu 0xfffd
	v_add_co_ci_u32_e64 v22, null, s13, v22, vcc_lo
	s_wait_loadcnt_dscnt 0x0
	v_mul_f32_e32 v39, v36, v38
	s_delay_alu instid0(VALU_DEP_1) | instskip(SKIP_1) | instid1(VALU_DEP_2)
	v_dual_fmac_f32 v39, v35, v37 :: v_dual_add_nc_u32 v34, 1, v34
	v_mul_f32_e32 v36, v36, v37
	v_cmp_le_i32_e64 s3, s19, v34
	s_delay_alu instid0(VALU_DEP_3) | instskip(NEXT) | instid1(VALU_DEP_3)
	v_add_f32_e32 v17, v17, v39
	v_fma_f32 v35, v35, v38, -v36
	s_wait_alu 0xfffe
	s_or_b32 s26, s3, s26
	s_delay_alu instid0(VALU_DEP_1)
	v_add_f32_e32 v18, v18, v35
	s_wait_alu 0xfffe
	s_and_not1_b32 exec_lo, exec_lo, s26
	s_cbranch_execnz .LBB20_11
; %bb.12:                               ;   in Loop: Header=BB20_5 Depth=1
	s_or_b32 exec_lo, exec_lo, s26
.LBB20_13:                              ;   in Loop: Header=BB20_5 Depth=1
	s_wait_alu 0xfffe
	s_or_b32 exec_lo, exec_lo, s25
	s_mov_b32 s25, 0
.LBB20_14:                              ;   in Loop: Header=BB20_5 Depth=1
	s_wait_alu 0xfffe
	s_and_b32 vcc_lo, exec_lo, s25
	s_wait_alu 0xfffe
	s_cbranch_vccz .LBB20_3
; %bb.15:                               ;   in Loop: Header=BB20_5 Depth=1
	s_and_not1_b32 vcc_lo, exec_lo, s18
	s_wait_alu 0xfffe
	s_cbranch_vccnz .LBB20_17
; %bb.16:                               ;   in Loop: Header=BB20_5 Depth=1
	v_add_co_u32 v17, vcc_lo, v32, v9
	s_wait_alu 0xfffd
	v_add_co_ci_u32_e64 v18, null, v33, v10, vcc_lo
	s_delay_alu instid0(VALU_DEP_2) | instskip(SKIP_1) | instid1(VALU_DEP_2)
	v_add_co_u32 v17, vcc_lo, v17, v3
	s_wait_alu 0xfffd
	v_add_co_ci_u32_e64 v18, null, v18, v4, vcc_lo
	flat_load_b64 v[17:18], v[17:18]
	s_wait_loadcnt_dscnt 0x0
	v_mul_f32_e32 v19, v12, v18
	v_mul_f32_e32 v18, v11, v18
	s_delay_alu instid0(VALU_DEP_2) | instskip(NEXT) | instid1(VALU_DEP_2)
	v_fmac_f32_e32 v19, v11, v17
	v_fma_f32 v12, v12, v17, -v18
	s_delay_alu instid0(VALU_DEP_2)
	v_mov_b32_e32 v11, v19
.LBB20_17:                              ;   in Loop: Header=BB20_5 Depth=1
	s_and_saveexec_b32 s25, s1
	s_cbranch_execz .LBB20_2
; %bb.18:                               ;   in Loop: Header=BB20_5 Depth=1
	v_add_co_u32 v15, vcc_lo, v15, s20
	s_wait_alu 0xfffd
	v_add_co_ci_u32_e64 v16, null, s21, v16, vcc_lo
	v_add_co_u32 v13, vcc_lo, v13, v29
	s_wait_alu 0xfffd
	v_add_co_ci_u32_e64 v14, null, v14, v28, vcc_lo
	v_mov_b32_e32 v17, v0
	s_mov_b32 s26, 0
.LBB20_19:                              ;   Parent Loop BB20_5 Depth=1
                                        ; =>  This Inner Loop Header: Depth=2
	flat_load_b64 v[18:19], v[13:14] offset:-4
	flat_load_b64 v[20:21], v[15:16] offset:-4
	v_add_co_u32 v15, vcc_lo, v15, s12
	s_wait_alu 0xfffd
	v_add_co_ci_u32_e64 v16, null, s13, v16, vcc_lo
	v_add_co_u32 v13, vcc_lo, v13, 8
	s_wait_alu 0xfffd
	v_add_co_ci_u32_e64 v14, null, 0, v14, vcc_lo
	s_wait_loadcnt_dscnt 0x0
	v_mul_f32_e32 v22, v19, v21
	v_mul_f32_e32 v19, v19, v20
	s_delay_alu instid0(VALU_DEP_2) | instskip(NEXT) | instid1(VALU_DEP_2)
	v_dual_fmac_f32 v22, v18, v20 :: v_dual_add_nc_u32 v17, -1, v17
	v_fma_f32 v18, v18, v21, -v19
	s_delay_alu instid0(VALU_DEP_2) | instskip(NEXT) | instid1(VALU_DEP_3)
	v_cmp_eq_u32_e64 s3, 0, v17
	v_add_f32_e32 v11, v11, v22
	s_delay_alu instid0(VALU_DEP_3)
	v_add_f32_e32 v12, v12, v18
	s_wait_alu 0xfffe
	s_or_b32 s26, s3, s26
	s_wait_alu 0xfffe
	s_and_not1_b32 exec_lo, exec_lo, s26
	s_cbranch_execnz .LBB20_19
; %bb.20:                               ;   in Loop: Header=BB20_5 Depth=1
	s_or_b32 exec_lo, exec_lo, s26
	s_branch .LBB20_2
.LBB20_21:
	s_endpgm
	.section	.rodata,"a",@progbits
	.p2align	6, 0x0
	.amdhsa_kernel _ZL20rocblas_tpmvc_kernelILi512EPKPK19rocblas_complex_numIfEPKPS1_S6_EvbbiT0_llT1_lllT2_li
		.amdhsa_group_segment_fixed_size 0
		.amdhsa_private_segment_fixed_size 0
		.amdhsa_kernarg_size 344
		.amdhsa_user_sgpr_count 2
		.amdhsa_user_sgpr_dispatch_ptr 0
		.amdhsa_user_sgpr_queue_ptr 0
		.amdhsa_user_sgpr_kernarg_segment_ptr 1
		.amdhsa_user_sgpr_dispatch_id 0
		.amdhsa_user_sgpr_private_segment_size 0
		.amdhsa_wavefront_size32 1
		.amdhsa_uses_dynamic_stack 0
		.amdhsa_enable_private_segment 0
		.amdhsa_system_sgpr_workgroup_id_x 1
		.amdhsa_system_sgpr_workgroup_id_y 0
		.amdhsa_system_sgpr_workgroup_id_z 1
		.amdhsa_system_sgpr_workgroup_info 0
		.amdhsa_system_vgpr_workitem_id 0
		.amdhsa_next_free_vgpr 40
		.amdhsa_next_free_sgpr 30
		.amdhsa_reserve_vcc 1
		.amdhsa_float_round_mode_32 0
		.amdhsa_float_round_mode_16_64 0
		.amdhsa_float_denorm_mode_32 3
		.amdhsa_float_denorm_mode_16_64 3
		.amdhsa_fp16_overflow 0
		.amdhsa_workgroup_processor_mode 1
		.amdhsa_memory_ordered 1
		.amdhsa_forward_progress 1
		.amdhsa_inst_pref_size 12
		.amdhsa_round_robin_scheduling 0
		.amdhsa_exception_fp_ieee_invalid_op 0
		.amdhsa_exception_fp_denorm_src 0
		.amdhsa_exception_fp_ieee_div_zero 0
		.amdhsa_exception_fp_ieee_overflow 0
		.amdhsa_exception_fp_ieee_underflow 0
		.amdhsa_exception_fp_ieee_inexact 0
		.amdhsa_exception_int_div_zero 0
	.end_amdhsa_kernel
	.section	.text._ZL20rocblas_tpmvc_kernelILi512EPKPK19rocblas_complex_numIfEPKPS1_S6_EvbbiT0_llT1_lllT2_li,"axG",@progbits,_ZL20rocblas_tpmvc_kernelILi512EPKPK19rocblas_complex_numIfEPKPS1_S6_EvbbiT0_llT1_lllT2_li,comdat
.Lfunc_end20:
	.size	_ZL20rocblas_tpmvc_kernelILi512EPKPK19rocblas_complex_numIfEPKPS1_S6_EvbbiT0_llT1_lllT2_li, .Lfunc_end20-_ZL20rocblas_tpmvc_kernelILi512EPKPK19rocblas_complex_numIfEPKPS1_S6_EvbbiT0_llT1_lllT2_li
                                        ; -- End function
	.set _ZL20rocblas_tpmvc_kernelILi512EPKPK19rocblas_complex_numIfEPKPS1_S6_EvbbiT0_llT1_lllT2_li.num_vgpr, 40
	.set _ZL20rocblas_tpmvc_kernelILi512EPKPK19rocblas_complex_numIfEPKPS1_S6_EvbbiT0_llT1_lllT2_li.num_agpr, 0
	.set _ZL20rocblas_tpmvc_kernelILi512EPKPK19rocblas_complex_numIfEPKPS1_S6_EvbbiT0_llT1_lllT2_li.numbered_sgpr, 30
	.set _ZL20rocblas_tpmvc_kernelILi512EPKPK19rocblas_complex_numIfEPKPS1_S6_EvbbiT0_llT1_lllT2_li.num_named_barrier, 0
	.set _ZL20rocblas_tpmvc_kernelILi512EPKPK19rocblas_complex_numIfEPKPS1_S6_EvbbiT0_llT1_lllT2_li.private_seg_size, 0
	.set _ZL20rocblas_tpmvc_kernelILi512EPKPK19rocblas_complex_numIfEPKPS1_S6_EvbbiT0_llT1_lllT2_li.uses_vcc, 1
	.set _ZL20rocblas_tpmvc_kernelILi512EPKPK19rocblas_complex_numIfEPKPS1_S6_EvbbiT0_llT1_lllT2_li.uses_flat_scratch, 0
	.set _ZL20rocblas_tpmvc_kernelILi512EPKPK19rocblas_complex_numIfEPKPS1_S6_EvbbiT0_llT1_lllT2_li.has_dyn_sized_stack, 0
	.set _ZL20rocblas_tpmvc_kernelILi512EPKPK19rocblas_complex_numIfEPKPS1_S6_EvbbiT0_llT1_lllT2_li.has_recursion, 0
	.set _ZL20rocblas_tpmvc_kernelILi512EPKPK19rocblas_complex_numIfEPKPS1_S6_EvbbiT0_llT1_lllT2_li.has_indirect_call, 0
	.section	.AMDGPU.csdata,"",@progbits
; Kernel info:
; codeLenInByte = 1496
; TotalNumSgprs: 32
; NumVgprs: 40
; ScratchSize: 0
; MemoryBound: 0
; FloatMode: 240
; IeeeMode: 1
; LDSByteSize: 0 bytes/workgroup (compile time only)
; SGPRBlocks: 0
; VGPRBlocks: 4
; NumSGPRsForWavesPerEU: 32
; NumVGPRsForWavesPerEU: 40
; Occupancy: 16
; WaveLimiterHint : 1
; COMPUTE_PGM_RSRC2:SCRATCH_EN: 0
; COMPUTE_PGM_RSRC2:USER_SGPR: 2
; COMPUTE_PGM_RSRC2:TRAP_HANDLER: 0
; COMPUTE_PGM_RSRC2:TGID_X_EN: 1
; COMPUTE_PGM_RSRC2:TGID_Y_EN: 0
; COMPUTE_PGM_RSRC2:TGID_Z_EN: 1
; COMPUTE_PGM_RSRC2:TIDIG_COMP_CNT: 0
	.section	.text._ZL20rocblas_tpmvn_kernelILi512EPKPK19rocblas_complex_numIdEPKPS1_S6_EvbbiT0_llT1_lllT2_li,"axG",@progbits,_ZL20rocblas_tpmvn_kernelILi512EPKPK19rocblas_complex_numIdEPKPS1_S6_EvbbiT0_llT1_lllT2_li,comdat
	.globl	_ZL20rocblas_tpmvn_kernelILi512EPKPK19rocblas_complex_numIdEPKPS1_S6_EvbbiT0_llT1_lllT2_li ; -- Begin function _ZL20rocblas_tpmvn_kernelILi512EPKPK19rocblas_complex_numIdEPKPS1_S6_EvbbiT0_llT1_lllT2_li
	.p2align	8
	.type	_ZL20rocblas_tpmvn_kernelILi512EPKPK19rocblas_complex_numIdEPKPS1_S6_EvbbiT0_llT1_lllT2_li,@function
_ZL20rocblas_tpmvn_kernelILi512EPKPK19rocblas_complex_numIdEPKPS1_S6_EvbbiT0_llT1_lllT2_li: ; @_ZL20rocblas_tpmvn_kernelILi512EPKPK19rocblas_complex_numIdEPKPS1_S6_EvbbiT0_llT1_lllT2_li
; %bb.0:
	s_load_b32 s33, s[0:1], 0x50
	s_lshr_b32 s16, ttmp7, 16
	s_wait_kmcnt 0x0
	s_cmp_ge_u32 s16, s33
	s_cbranch_scc1 .LBB21_21
; %bb.1:
	s_clause 0x6
	s_load_b32 s2, s[0:1], 0x0
	s_load_b64 s[18:19], s[0:1], 0x0
	s_load_b32 s3, s[0:1], 0x64
	s_load_b128 s[4:7], s[0:1], 0x20
	s_load_b64 s[24:25], s[0:1], 0x30
	s_load_b128 s[8:11], s[0:1], 0x8
	s_load_b128 s[12:15], s[0:1], 0x40
	s_mov_b32 s17, 0
	s_wait_kmcnt 0x0
	s_bitcmp1_b32 s2, 0
	s_mov_b32 s20, s19
	s_cselect_b32 s2, -1, 0
	s_delay_alu instid0(SALU_CYCLE_1)
	s_xor_b32 s38, s2, -1
	s_bitcmp1_b32 s18, 8
	s_cselect_b32 s18, -1, 0
	s_and_b32 s2, s3, 0xffff
	s_lshl_b64 s[6:7], s[6:7], 4
	v_mad_co_u64_u32 v[8:9], null, ttmp9, s2, v[0:1]
	s_or_b32 s22, s6, 8
	s_xor_b32 s18, s18, -1
	s_ashr_i32 s21, s19, 31
	v_cndmask_b32_e64 v27, 0, 1, s18
	s_mov_b32 s23, s7
	s_lshl_b64 s[10:11], s[10:11], 4
	v_ashrrev_i32_e32 v9, 31, v8
	v_add_co_u32 v4, vcc_lo, v8, -1
	v_add_nc_u32_e32 v10, 1, v8
	v_mul_lo_u32 v16, s25, v8
	s_delay_alu instid0(VALU_DEP_4) | instskip(NEXT) | instid1(VALU_DEP_4)
	v_add_co_ci_u32_e64 v13, null, -1, v9, vcc_lo
	v_mul_lo_u32 v18, v4, v9
	v_mad_co_u64_u32 v[4:5], null, v4, v8, 0
	s_delay_alu instid0(VALU_DEP_3)
	v_mul_lo_u32 v13, v13, v8
	v_ashrrev_i32_e32 v11, 31, v10
	v_mad_co_u64_u32 v[0:1], null, s24, v8, 0
	v_mul_lo_u32 v17, s24, v9
	v_mul_lo_u32 v19, s25, v10
	v_mad_co_u64_u32 v[20:21], null, s24, v10, 0
	v_mul_lo_u32 v22, s24, v11
	v_add3_u32 v5, v5, v18, v13
	v_mad_co_i64_i32 v[2:3], null, v8, s19, 0
	v_lshlrev_b64_e32 v[14:15], 4, v[8:9]
	v_mad_co_i64_i32 v[6:7], null, v10, v8, 0
	s_delay_alu instid0(VALU_DEP_4)
	v_lshrrev_b64 v[4:5], 1, v[4:5]
	v_add3_u32 v1, v1, v17, v16
	v_add3_u32 v21, v21, v22, v19
	v_add_co_u32 v9, vcc_lo, s12, v14
	s_wait_alu 0xfffd
	v_add_co_ci_u32_e64 v24, null, s13, v15, vcc_lo
	v_lshlrev_b64_e32 v[16:17], 4, v[0:1]
	v_lshlrev_b64_e32 v[0:1], 4, v[20:21]
	v_sub_co_u32 v2, vcc_lo, v2, v4
	v_lshrrev_b64 v[6:7], 1, v[6:7]
	s_wait_alu 0xfffd
	v_sub_co_ci_u32_e64 v3, null, v3, v5, vcc_lo
	v_add_nc_u32_e32 v12, 2, v8
	v_add_co_u32 v25, vcc_lo, s22, v0
	s_delay_alu instid0(VALU_DEP_4) | instskip(NEXT) | instid1(VALU_DEP_4)
	v_lshlrev_b64_e32 v[18:19], 4, v[6:7]
	v_lshlrev_b64_e32 v[20:21], 4, v[2:3]
	v_cmp_gt_i32_e64 s0, s19, v8
	v_cmp_lt_i32_e64 s1, 0, v8
	v_cmp_gt_i32_e64 s2, s19, v10
	v_ashrrev_i32_e32 v13, 31, v12
	s_wait_alu 0xfffd
	v_add_co_ci_u32_e64 v26, null, s7, v1, vcc_lo
	s_lshl_b64 s[12:13], s[24:25], 4
	s_branch .LBB21_5
.LBB21_2:                               ;   in Loop: Header=BB21_5 Depth=1
	s_wait_alu 0xfffe
	s_or_b32 exec_lo, exec_lo, s28
	s_wait_loadcnt_dscnt 0x0
	s_delay_alu instid0(VALU_DEP_1) | instskip(NEXT) | instid1(VALU_DEP_3)
	v_dual_mov_b32 v7, v3 :: v_dual_mov_b32 v6, v2
	v_dual_mov_b32 v5, v1 :: v_dual_mov_b32 v4, v0
.LBB21_3:                               ;   in Loop: Header=BB21_5 Depth=1
	s_mul_u64 s[24:25], s[14:15], s[16:17]
	s_wait_alu 0xfffe
	s_lshl_b64 s[24:25], s[24:25], 4
	s_wait_loadcnt_dscnt 0x0
	s_wait_alu 0xfffe
	v_add_co_u32 v0, vcc_lo, v9, s24
	s_wait_alu 0xfffd
	v_add_co_ci_u32_e64 v1, null, s25, v24, vcc_lo
	global_store_b128 v[0:1], v[4:7], off
.LBB21_4:                               ;   in Loop: Header=BB21_5 Depth=1
	s_or_b32 exec_lo, exec_lo, s39
	s_add_co_i32 s16, s16, 0x10000
	s_delay_alu instid0(SALU_CYCLE_1)
	s_cmp_lt_u32 s16, s33
	s_cbranch_scc0 .LBB21_21
.LBB21_5:                               ; =>This Loop Header: Depth=1
                                        ;     Child Loop BB21_11 Depth 2
                                        ;     Child Loop BB21_19 Depth 2
	s_and_saveexec_b32 s39, s0
	s_cbranch_execz .LBB21_4
; %bb.6:                                ;   in Loop: Header=BB21_5 Depth=1
	s_lshl_b64 s[26:27], s[16:17], 3
	v_cmp_ne_u32_e64 s3, 1, v27
	s_wait_alu 0xfffe
	s_add_nc_u64 s[24:25], s[4:5], s[26:27]
	s_add_nc_u64 s[26:27], s[8:9], s[26:27]
	s_load_b64 s[24:25], s[24:25], 0x0
	s_load_b64 s[26:27], s[26:27], 0x0
                                        ; implicit-def: $vgpr6_vgpr7
	s_wait_kmcnt 0x0
	s_add_nc_u64 s[28:29], s[24:25], s[6:7]
	s_add_nc_u64 s[26:27], s[26:27], s[10:11]
	s_wait_alu 0xfffe
	v_add_co_u32 v0, vcc_lo, s28, v16
	s_wait_alu 0xfffd
	v_add_co_ci_u32_e64 v1, null, s29, v17, vcc_lo
	s_and_b32 vcc_lo, exec_lo, s38
	s_mov_b32 s28, -1
	flat_load_b128 v[0:3], v[0:1]
	s_wait_alu 0xfffe
	s_cbranch_vccz .LBB21_14
; %bb.7:                                ;   in Loop: Header=BB21_5 Depth=1
	s_wait_loadcnt_dscnt 0x0
	v_dual_mov_b32 v5, v1 :: v_dual_mov_b32 v4, v0
	v_dual_mov_b32 v7, v3 :: v_dual_mov_b32 v6, v2
	s_and_b32 vcc_lo, exec_lo, s3
	s_wait_alu 0xfffe
	s_cbranch_vccnz .LBB21_9
; %bb.8:                                ;   in Loop: Header=BB21_5 Depth=1
	v_add_co_u32 v4, vcc_lo, s26, v20
	s_wait_alu 0xfffd
	v_add_co_ci_u32_e64 v5, null, s27, v21, vcc_lo
	flat_load_b128 v[28:31], v[4:5]
	s_wait_loadcnt_dscnt 0x0
	v_mul_f64_e32 v[4:5], v[2:3], v[30:31]
	v_mul_f64_e32 v[6:7], v[0:1], v[30:31]
	s_delay_alu instid0(VALU_DEP_2) | instskip(NEXT) | instid1(VALU_DEP_2)
	v_fma_f64 v[4:5], v[0:1], v[28:29], -v[4:5]
	v_fma_f64 v[6:7], v[2:3], v[28:29], v[6:7]
.LBB21_9:                               ;   in Loop: Header=BB21_5 Depth=1
	s_and_saveexec_b32 s3, s1
	s_cbranch_execz .LBB21_13
; %bb.10:                               ;   in Loop: Header=BB21_5 Depth=1
	v_mov_b32_e32 v22, v8
	s_add_nc_u64 s[28:29], s[24:25], s[22:23]
	s_mov_b64 s[30:31], 0
	s_mov_b32 s40, 0
	s_mov_b64 s[36:37], 0
	s_mov_b64 s[34:35], 0
.LBB21_11:                              ;   Parent Loop BB21_5 Depth=1
                                        ; =>  This Inner Loop Header: Depth=2
	s_wait_alu 0xfffe
	v_add_co_u32 v23, s41, s34, v22
	s_wait_alu 0xf1ff
	v_add_co_ci_u32_e64 v29, null, s35, 0, s41
	s_lshr_b64 s[42:43], s[30:31], 1
	v_dual_mov_b32 v31, s29 :: v_dual_mov_b32 v30, s28
	s_wait_alu 0xfffe
	v_sub_co_u32 v28, vcc_lo, v23, s42
	s_wait_alu 0xfffd
	v_subrev_co_ci_u32_e64 v29, null, s43, v29, vcc_lo
	v_add_nc_u32_e32 v22, -1, v22
	s_add_nc_u64 s[42:43], s[36:37], 2
	s_add_nc_u64 s[28:29], s[28:29], s[12:13]
	s_delay_alu instid0(VALU_DEP_2) | instskip(SKIP_4) | instid1(VALU_DEP_1)
	v_lshlrev_b64_e32 v[28:29], 4, v[28:29]
	s_add_nc_u64 s[34:35], s[34:35], s[20:21]
	s_add_nc_u64 s[30:31], s[30:31], s[36:37]
	s_wait_alu 0xfffe
	s_mov_b64 s[36:37], s[42:43]
	v_add_co_u32 v32, vcc_lo, s26, v28
	s_wait_alu 0xfffd
	v_add_co_ci_u32_e64 v33, null, s27, v29, vcc_lo
	flat_load_b128 v[28:31], v[30:31] offset:-8
	flat_load_b128 v[32:35], v[32:33]
	v_cmp_eq_u32_e32 vcc_lo, 0, v22
	s_or_b32 s40, vcc_lo, s40
	s_wait_loadcnt_dscnt 0x0
	v_mul_f64_e32 v[36:37], v[30:31], v[34:35]
	v_mul_f64_e32 v[34:35], v[28:29], v[34:35]
	s_delay_alu instid0(VALU_DEP_2) | instskip(NEXT) | instid1(VALU_DEP_2)
	v_fma_f64 v[28:29], v[28:29], v[32:33], -v[36:37]
	v_fma_f64 v[30:31], v[30:31], v[32:33], v[34:35]
	s_delay_alu instid0(VALU_DEP_2) | instskip(NEXT) | instid1(VALU_DEP_2)
	v_add_f64_e32 v[4:5], v[4:5], v[28:29]
	v_add_f64_e32 v[6:7], v[6:7], v[30:31]
	s_wait_alu 0xfffe
	s_and_not1_b32 exec_lo, exec_lo, s40
	s_cbranch_execnz .LBB21_11
; %bb.12:                               ;   in Loop: Header=BB21_5 Depth=1
	s_or_b32 exec_lo, exec_lo, s40
.LBB21_13:                              ;   in Loop: Header=BB21_5 Depth=1
	s_wait_alu 0xfffe
	s_or_b32 exec_lo, exec_lo, s3
	s_mov_b32 s28, 0
.LBB21_14:                              ;   in Loop: Header=BB21_5 Depth=1
	s_wait_alu 0xfffe
	s_and_b32 vcc_lo, exec_lo, s28
	s_wait_alu 0xfffe
	s_cbranch_vccz .LBB21_3
; %bb.15:                               ;   in Loop: Header=BB21_5 Depth=1
	s_and_not1_b32 vcc_lo, exec_lo, s18
	s_wait_alu 0xfffe
	s_cbranch_vccnz .LBB21_17
; %bb.16:                               ;   in Loop: Header=BB21_5 Depth=1
	v_add_co_u32 v4, vcc_lo, s26, v18
	s_wait_alu 0xfffd
	v_add_co_ci_u32_e64 v5, null, s27, v19, vcc_lo
	s_delay_alu instid0(VALU_DEP_2) | instskip(SKIP_1) | instid1(VALU_DEP_2)
	v_add_co_u32 v4, vcc_lo, v4, v14
	s_wait_alu 0xfffd
	v_add_co_ci_u32_e64 v5, null, v5, v15, vcc_lo
	flat_load_b128 v[4:7], v[4:5]
	s_wait_loadcnt_dscnt 0x0
	v_mul_f64_e32 v[22:23], v[2:3], v[6:7]
	v_mul_f64_e32 v[6:7], v[0:1], v[6:7]
	s_delay_alu instid0(VALU_DEP_2) | instskip(NEXT) | instid1(VALU_DEP_2)
	v_fma_f64 v[0:1], v[0:1], v[4:5], -v[22:23]
	v_fma_f64 v[2:3], v[2:3], v[4:5], v[6:7]
.LBB21_17:                              ;   in Loop: Header=BB21_5 Depth=1
	s_and_saveexec_b32 s28, s2
	s_cbranch_execz .LBB21_2
; %bb.18:                               ;   in Loop: Header=BB21_5 Depth=1
	v_add_co_u32 v28, vcc_lo, s26, v14
	s_wait_alu 0xfffd
	v_add_co_ci_u32_e64 v29, null, s27, v15, vcc_lo
	v_add_co_u32 v4, vcc_lo, s24, v25
	s_wait_alu 0xfffd
	v_add_co_ci_u32_e64 v5, null, s25, v26, vcc_lo
	v_dual_mov_b32 v23, v11 :: v_dual_mov_b32 v22, v10
	v_dual_mov_b32 v6, v12 :: v_dual_mov_b32 v7, v13
	s_mov_b32 s24, 0
.LBB21_19:                              ;   Parent Loop BB21_5 Depth=1
                                        ; =>  This Inner Loop Header: Depth=2
	s_delay_alu instid0(VALU_DEP_1) | instskip(NEXT) | instid1(VALU_DEP_2)
	v_mul_lo_u32 v32, v7, v22
	v_mul_lo_u32 v33, v6, v23
	v_mad_co_u64_u32 v[30:31], null, v6, v22, 0
	s_delay_alu instid0(VALU_DEP_1) | instskip(NEXT) | instid1(VALU_DEP_1)
	v_add3_u32 v31, v31, v33, v32
	v_lshlrev_b64_e32 v[30:31], 3, v[30:31]
	s_delay_alu instid0(VALU_DEP_1) | instskip(NEXT) | instid1(VALU_DEP_1)
	v_and_b32_e32 v30, -16, v30
	v_add_co_u32 v34, vcc_lo, v28, v30
	s_wait_alu 0xfffd
	s_delay_alu instid0(VALU_DEP_3)
	v_add_co_ci_u32_e64 v35, null, v29, v31, vcc_lo
	flat_load_b128 v[30:33], v[4:5] offset:-8
	flat_load_b128 v[34:37], v[34:35]
	v_add_co_u32 v22, vcc_lo, v22, 1
	s_wait_alu 0xfffd
	v_add_co_ci_u32_e64 v23, null, 0, v23, vcc_lo
	v_add_co_u32 v6, vcc_lo, v6, 1
	s_wait_alu 0xfffd
	v_add_co_ci_u32_e64 v7, null, 0, v7, vcc_lo
	v_add_co_u32 v4, vcc_lo, v4, s12
	v_cmp_le_i32_e64 s3, s19, v22
	s_wait_alu 0xfffd
	v_add_co_ci_u32_e64 v5, null, s13, v5, vcc_lo
	s_wait_alu 0xfffe
	s_delay_alu instid0(VALU_DEP_2) | instskip(SKIP_3) | instid1(VALU_DEP_2)
	s_or_b32 s24, s3, s24
	s_wait_loadcnt_dscnt 0x0
	v_mul_f64_e32 v[38:39], v[32:33], v[36:37]
	v_mul_f64_e32 v[36:37], v[30:31], v[36:37]
	v_fma_f64 v[30:31], v[30:31], v[34:35], -v[38:39]
	s_delay_alu instid0(VALU_DEP_2) | instskip(NEXT) | instid1(VALU_DEP_2)
	v_fma_f64 v[32:33], v[32:33], v[34:35], v[36:37]
	v_add_f64_e32 v[0:1], v[0:1], v[30:31]
	s_delay_alu instid0(VALU_DEP_2)
	v_add_f64_e32 v[2:3], v[2:3], v[32:33]
	s_wait_alu 0xfffe
	s_and_not1_b32 exec_lo, exec_lo, s24
	s_cbranch_execnz .LBB21_19
; %bb.20:                               ;   in Loop: Header=BB21_5 Depth=1
	s_or_b32 exec_lo, exec_lo, s24
	s_branch .LBB21_2
.LBB21_21:
	s_endpgm
	.section	.rodata,"a",@progbits
	.p2align	6, 0x0
	.amdhsa_kernel _ZL20rocblas_tpmvn_kernelILi512EPKPK19rocblas_complex_numIdEPKPS1_S6_EvbbiT0_llT1_lllT2_li
		.amdhsa_group_segment_fixed_size 0
		.amdhsa_private_segment_fixed_size 0
		.amdhsa_kernarg_size 344
		.amdhsa_user_sgpr_count 2
		.amdhsa_user_sgpr_dispatch_ptr 0
		.amdhsa_user_sgpr_queue_ptr 0
		.amdhsa_user_sgpr_kernarg_segment_ptr 1
		.amdhsa_user_sgpr_dispatch_id 0
		.amdhsa_user_sgpr_private_segment_size 0
		.amdhsa_wavefront_size32 1
		.amdhsa_uses_dynamic_stack 0
		.amdhsa_enable_private_segment 0
		.amdhsa_system_sgpr_workgroup_id_x 1
		.amdhsa_system_sgpr_workgroup_id_y 0
		.amdhsa_system_sgpr_workgroup_id_z 1
		.amdhsa_system_sgpr_workgroup_info 0
		.amdhsa_system_vgpr_workitem_id 0
		.amdhsa_next_free_vgpr 40
		.amdhsa_next_free_sgpr 44
		.amdhsa_reserve_vcc 1
		.amdhsa_float_round_mode_32 0
		.amdhsa_float_round_mode_16_64 0
		.amdhsa_float_denorm_mode_32 3
		.amdhsa_float_denorm_mode_16_64 3
		.amdhsa_fp16_overflow 0
		.amdhsa_workgroup_processor_mode 1
		.amdhsa_memory_ordered 1
		.amdhsa_forward_progress 1
		.amdhsa_inst_pref_size 12
		.amdhsa_round_robin_scheduling 0
		.amdhsa_exception_fp_ieee_invalid_op 0
		.amdhsa_exception_fp_denorm_src 0
		.amdhsa_exception_fp_ieee_div_zero 0
		.amdhsa_exception_fp_ieee_overflow 0
		.amdhsa_exception_fp_ieee_underflow 0
		.amdhsa_exception_fp_ieee_inexact 0
		.amdhsa_exception_int_div_zero 0
	.end_amdhsa_kernel
	.section	.text._ZL20rocblas_tpmvn_kernelILi512EPKPK19rocblas_complex_numIdEPKPS1_S6_EvbbiT0_llT1_lllT2_li,"axG",@progbits,_ZL20rocblas_tpmvn_kernelILi512EPKPK19rocblas_complex_numIdEPKPS1_S6_EvbbiT0_llT1_lllT2_li,comdat
.Lfunc_end21:
	.size	_ZL20rocblas_tpmvn_kernelILi512EPKPK19rocblas_complex_numIdEPKPS1_S6_EvbbiT0_llT1_lllT2_li, .Lfunc_end21-_ZL20rocblas_tpmvn_kernelILi512EPKPK19rocblas_complex_numIdEPKPS1_S6_EvbbiT0_llT1_lllT2_li
                                        ; -- End function
	.set _ZL20rocblas_tpmvn_kernelILi512EPKPK19rocblas_complex_numIdEPKPS1_S6_EvbbiT0_llT1_lllT2_li.num_vgpr, 40
	.set _ZL20rocblas_tpmvn_kernelILi512EPKPK19rocblas_complex_numIdEPKPS1_S6_EvbbiT0_llT1_lllT2_li.num_agpr, 0
	.set _ZL20rocblas_tpmvn_kernelILi512EPKPK19rocblas_complex_numIdEPKPS1_S6_EvbbiT0_llT1_lllT2_li.numbered_sgpr, 44
	.set _ZL20rocblas_tpmvn_kernelILi512EPKPK19rocblas_complex_numIdEPKPS1_S6_EvbbiT0_llT1_lllT2_li.num_named_barrier, 0
	.set _ZL20rocblas_tpmvn_kernelILi512EPKPK19rocblas_complex_numIdEPKPS1_S6_EvbbiT0_llT1_lllT2_li.private_seg_size, 0
	.set _ZL20rocblas_tpmvn_kernelILi512EPKPK19rocblas_complex_numIdEPKPS1_S6_EvbbiT0_llT1_lllT2_li.uses_vcc, 1
	.set _ZL20rocblas_tpmvn_kernelILi512EPKPK19rocblas_complex_numIdEPKPS1_S6_EvbbiT0_llT1_lllT2_li.uses_flat_scratch, 0
	.set _ZL20rocblas_tpmvn_kernelILi512EPKPK19rocblas_complex_numIdEPKPS1_S6_EvbbiT0_llT1_lllT2_li.has_dyn_sized_stack, 0
	.set _ZL20rocblas_tpmvn_kernelILi512EPKPK19rocblas_complex_numIdEPKPS1_S6_EvbbiT0_llT1_lllT2_li.has_recursion, 0
	.set _ZL20rocblas_tpmvn_kernelILi512EPKPK19rocblas_complex_numIdEPKPS1_S6_EvbbiT0_llT1_lllT2_li.has_indirect_call, 0
	.section	.AMDGPU.csdata,"",@progbits
; Kernel info:
; codeLenInByte = 1460
; TotalNumSgprs: 46
; NumVgprs: 40
; ScratchSize: 0
; MemoryBound: 0
; FloatMode: 240
; IeeeMode: 1
; LDSByteSize: 0 bytes/workgroup (compile time only)
; SGPRBlocks: 0
; VGPRBlocks: 4
; NumSGPRsForWavesPerEU: 46
; NumVGPRsForWavesPerEU: 40
; Occupancy: 16
; WaveLimiterHint : 1
; COMPUTE_PGM_RSRC2:SCRATCH_EN: 0
; COMPUTE_PGM_RSRC2:USER_SGPR: 2
; COMPUTE_PGM_RSRC2:TRAP_HANDLER: 0
; COMPUTE_PGM_RSRC2:TGID_X_EN: 1
; COMPUTE_PGM_RSRC2:TGID_Y_EN: 0
; COMPUTE_PGM_RSRC2:TGID_Z_EN: 1
; COMPUTE_PGM_RSRC2:TIDIG_COMP_CNT: 0
	.section	.text._ZL20rocblas_tpmvt_kernelILi512EPKPK19rocblas_complex_numIdEPKPS1_S6_EvbbiT0_llT1_lllT2_li,"axG",@progbits,_ZL20rocblas_tpmvt_kernelILi512EPKPK19rocblas_complex_numIdEPKPS1_S6_EvbbiT0_llT1_lllT2_li,comdat
	.globl	_ZL20rocblas_tpmvt_kernelILi512EPKPK19rocblas_complex_numIdEPKPS1_S6_EvbbiT0_llT1_lllT2_li ; -- Begin function _ZL20rocblas_tpmvt_kernelILi512EPKPK19rocblas_complex_numIdEPKPS1_S6_EvbbiT0_llT1_lllT2_li
	.p2align	8
	.type	_ZL20rocblas_tpmvt_kernelILi512EPKPK19rocblas_complex_numIdEPKPS1_S6_EvbbiT0_llT1_lllT2_li,@function
_ZL20rocblas_tpmvt_kernelILi512EPKPK19rocblas_complex_numIdEPKPS1_S6_EvbbiT0_llT1_lllT2_li: ; @_ZL20rocblas_tpmvt_kernelILi512EPKPK19rocblas_complex_numIdEPKPS1_S6_EvbbiT0_llT1_lllT2_li
; %bb.0:
	s_load_b32 s28, s[0:1], 0x50
	s_lshr_b32 s16, ttmp7, 16
	s_wait_kmcnt 0x0
	s_cmp_ge_u32 s16, s28
	s_cbranch_scc1 .LBB22_21
; %bb.1:
	s_clause 0x6
	s_load_b32 s2, s[0:1], 0x0
	s_load_b64 s[18:19], s[0:1], 0x0
	s_load_b32 s3, s[0:1], 0x64
	s_load_b128 s[4:7], s[0:1], 0x8
	s_load_b64 s[20:21], s[0:1], 0x30
	s_load_b128 s[8:11], s[0:1], 0x20
	s_load_b128 s[12:15], s[0:1], 0x40
	s_mov_b32 s17, 0
	s_wait_kmcnt 0x0
	s_bitcmp1_b32 s2, 0
	s_mov_b32 s0, s19
	s_cselect_b32 s2, -1, 0
	s_delay_alu instid0(SALU_CYCLE_1)
	s_xor_b32 s29, s2, -1
	s_bitcmp1_b32 s18, 8
	s_cselect_b32 s18, -1, 0
	s_and_b32 s2, s3, 0xffff
	s_ashr_i32 s1, s19, 31
	v_mad_co_u64_u32 v[8:9], null, ttmp9, s2, v[0:1]
	s_lshl_b64 s[0:1], s[0:1], 4
	s_lshl_b64 s[6:7], s[6:7], 4
	s_wait_alu 0xfffe
	s_add_nc_u64 s[22:23], s[0:1], -16
	s_lshl_b64 s[10:11], s[10:11], 4
	s_xor_b32 s18, s18, -1
	v_ashrrev_i32_e32 v9, 31, v8
	v_add_co_u32 v11, vcc_lo, v8, -1
	v_add_nc_u32_e32 v10, 1, v8
	v_mul_lo_u32 v19, s21, v8
	s_delay_alu instid0(VALU_DEP_4) | instskip(NEXT) | instid1(VALU_DEP_4)
	v_add_co_ci_u32_e64 v14, null, -1, v9, vcc_lo
	v_mul_lo_u32 v16, v11, v9
	s_delay_alu instid0(VALU_DEP_4) | instskip(SKIP_1) | instid1(VALU_DEP_4)
	v_mad_co_u64_u32 v[6:7], null, v10, v8, 0
	v_mad_co_u64_u32 v[12:13], null, v11, v8, 0
	v_mul_lo_u32 v17, v14, v8
	v_mad_co_u64_u32 v[0:1], null, s20, v8, 0
	v_mul_lo_u32 v20, s20, v9
	v_mad_co_i64_i32 v[2:3], null, v8, s19, 0
	v_mul_lo_u32 v21, s23, v8
	v_mad_co_u64_u32 v[4:5], null, s22, v8, s[6:7]
	v_add3_u32 v13, v13, v16, v17
	v_mad_co_u64_u32 v[16:17], null, v10, v9, v[7:8]
	v_mul_lo_u32 v22, s22, v9
	v_add3_u32 v1, v1, v20, v19
	v_cmp_gt_i32_e64 s0, s19, v8
	v_cmp_lt_i32_e64 s1, 0, v8
	v_cndmask_b32_e64 v30, 0, 1, s18
	v_mov_b32_e32 v7, v16
	v_ashrrev_i32_e32 v11, 31, v10
	v_mad_co_i64_i32 v[14:15], null, v10, v8, 0
	v_mul_lo_u32 v23, s21, v10
	v_add3_u32 v5, v21, v5, v22
	s_delay_alu instid0(VALU_DEP_4)
	v_lshlrev_b64_e32 v[17:18], 4, v[10:11]
	v_mul_lo_u32 v24, s20, v11
	v_lshrrev_b64 v[11:12], 1, v[12:13]
	v_cmp_gt_i32_e64 s2, s19, v10
	v_lshrrev_b64 v[19:20], 1, v[14:15]
	v_mad_co_u64_u32 v[15:16], null, s20, v10, 0
	s_delay_alu instid0(VALU_DEP_4)
	v_sub_co_u32 v2, vcc_lo, v2, v11
	v_lshlrev_b64_e32 v[13:14], 4, v[11:12]
	s_wait_alu 0xfffd
	v_sub_co_ci_u32_e64 v3, null, v3, v12, vcc_lo
	v_add_co_u32 v4, vcc_lo, v4, v17
	s_wait_alu 0xfffd
	v_add_co_ci_u32_e64 v17, null, v5, v18, vcc_lo
	v_add3_u32 v16, v16, v24, v23
	s_delay_alu instid0(VALU_DEP_3) | instskip(SKIP_2) | instid1(VALU_DEP_4)
	v_sub_co_u32 v13, vcc_lo, v4, v13
	v_lshlrev_b64_e32 v[4:5], 3, v[6:7]
	v_lshlrev_b64_e32 v[11:12], 4, v[8:9]
	;; [unrolled: 1-line block ×3, first 2 shown]
	s_wait_alu 0xfffd
	v_sub_co_ci_u32_e64 v24, null, v17, v14, vcc_lo
	v_or_b32_e32 v25, 8, v13
	v_and_b32_e32 v4, -16, v4
	v_add_co_u32 v9, s3, s12, v11
	s_wait_alu 0xf1ff
	v_add_co_ci_u32_e64 v23, null, s13, v12, s3
	v_add_co_u32 v6, vcc_lo, v6, s10
	v_add_co_u32 v4, s3, s6, v4
	v_lshlrev_b64_e32 v[13:14], 4, v[0:1]
	v_lshlrev_b64_e32 v[15:16], 4, v[2:3]
	;; [unrolled: 1-line block ×3, first 2 shown]
	s_wait_alu 0xfffd
	v_add_co_ci_u32_e64 v26, null, s11, v7, vcc_lo
	v_or_b32_e32 v27, 8, v6
	s_wait_alu 0xf1ff
	v_add_co_ci_u32_e64 v28, null, s7, v5, s3
	v_or_b32_e32 v29, 8, v4
	s_lshl_b64 s[12:13], s[20:21], 4
	s_or_b32 s20, s10, 8
	s_mov_b32 s21, s11
	s_branch .LBB22_5
.LBB22_2:                               ;   in Loop: Header=BB22_5 Depth=1
	s_wait_alu 0xfffe
	s_or_b32 exec_lo, exec_lo, s26
	s_wait_loadcnt_dscnt 0x0
	s_delay_alu instid0(VALU_DEP_1) | instskip(NEXT) | instid1(VALU_DEP_3)
	v_dual_mov_b32 v7, v3 :: v_dual_mov_b32 v6, v2
	v_dual_mov_b32 v5, v1 :: v_dual_mov_b32 v4, v0
.LBB22_3:                               ;   in Loop: Header=BB22_5 Depth=1
	s_mul_u64 s[22:23], s[14:15], s[16:17]
	s_wait_alu 0xfffe
	s_lshl_b64 s[22:23], s[22:23], 4
	s_wait_loadcnt_dscnt 0x0
	s_wait_alu 0xfffe
	v_add_co_u32 v0, vcc_lo, v9, s22
	s_wait_alu 0xfffd
	v_add_co_ci_u32_e64 v1, null, s23, v23, vcc_lo
	global_store_b128 v[0:1], v[4:7], off
.LBB22_4:                               ;   in Loop: Header=BB22_5 Depth=1
	s_or_b32 exec_lo, exec_lo, s30
	s_add_co_i32 s16, s16, 0x10000
	s_delay_alu instid0(SALU_CYCLE_1)
	s_cmp_lt_u32 s16, s28
	s_cbranch_scc0 .LBB22_21
.LBB22_5:                               ; =>This Loop Header: Depth=1
                                        ;     Child Loop BB22_11 Depth 2
                                        ;     Child Loop BB22_19 Depth 2
	s_and_saveexec_b32 s30, s0
	s_cbranch_execz .LBB22_4
; %bb.6:                                ;   in Loop: Header=BB22_5 Depth=1
	s_lshl_b64 s[24:25], s[16:17], 3
	v_cmp_ne_u32_e64 s3, 1, v30
	s_wait_alu 0xfffe
	s_add_nc_u64 s[22:23], s[8:9], s[24:25]
	s_add_nc_u64 s[24:25], s[4:5], s[24:25]
	s_load_b64 s[22:23], s[22:23], 0x0
	s_load_b64 s[24:25], s[24:25], 0x0
	s_mov_b32 s31, -1
                                        ; implicit-def: $vgpr6_vgpr7
	s_wait_kmcnt 0x0
	s_add_nc_u64 s[26:27], s[22:23], s[10:11]
	s_wait_alu 0xfffe
	v_add_co_u32 v0, vcc_lo, s26, v13
	s_wait_alu 0xfffd
	v_add_co_ci_u32_e64 v1, null, s27, v14, vcc_lo
	s_add_nc_u64 s[26:27], s[24:25], s[6:7]
	s_and_b32 vcc_lo, exec_lo, s29
	flat_load_b128 v[0:3], v[0:1]
	s_wait_alu 0xfffe
	s_cbranch_vccz .LBB22_14
; %bb.7:                                ;   in Loop: Header=BB22_5 Depth=1
	s_wait_loadcnt_dscnt 0x0
	v_dual_mov_b32 v5, v1 :: v_dual_mov_b32 v4, v0
	v_dual_mov_b32 v7, v3 :: v_dual_mov_b32 v6, v2
	s_and_b32 vcc_lo, exec_lo, s3
	s_wait_alu 0xfffe
	s_cbranch_vccnz .LBB22_9
; %bb.8:                                ;   in Loop: Header=BB22_5 Depth=1
	v_add_co_u32 v4, vcc_lo, s26, v15
	s_wait_alu 0xfffd
	v_add_co_ci_u32_e64 v5, null, s27, v16, vcc_lo
	flat_load_b128 v[19:22], v[4:5]
	s_wait_loadcnt_dscnt 0x0
	v_mul_f64_e32 v[4:5], v[2:3], v[21:22]
	v_mul_f64_e32 v[6:7], v[0:1], v[21:22]
	s_delay_alu instid0(VALU_DEP_2) | instskip(NEXT) | instid1(VALU_DEP_2)
	v_fma_f64 v[4:5], v[0:1], v[19:20], -v[4:5]
	v_fma_f64 v[6:7], v[2:3], v[19:20], v[6:7]
.LBB22_9:                               ;   in Loop: Header=BB22_5 Depth=1
	s_and_saveexec_b32 s31, s2
	s_cbranch_execz .LBB22_13
; %bb.10:                               ;   in Loop: Header=BB22_5 Depth=1
	v_add_co_u32 v19, vcc_lo, s24, v25
	s_wait_alu 0xfffd
	v_add_co_ci_u32_e64 v20, null, s25, v24, vcc_lo
	v_add_co_u32 v21, vcc_lo, s22, v27
	s_wait_alu 0xfffd
	v_add_co_ci_u32_e64 v22, null, s23, v26, vcc_lo
	v_mov_b32_e32 v31, v10
	s_mov_b32 s33, 0
.LBB22_11:                              ;   Parent Loop BB22_5 Depth=1
                                        ; =>  This Inner Loop Header: Depth=2
	flat_load_b128 v[32:35], v[21:22] offset:-8
	flat_load_b128 v[36:39], v[19:20] offset:-8
	v_add_nc_u32_e32 v31, 1, v31
	v_add_co_u32 v19, vcc_lo, v19, 16
	s_wait_alu 0xfffd
	v_add_co_ci_u32_e64 v20, null, 0, v20, vcc_lo
	s_delay_alu instid0(VALU_DEP_3)
	v_cmp_le_i32_e32 vcc_lo, s19, v31
	v_add_co_u32 v21, s3, v21, s12
	s_wait_alu 0xf1ff
	v_add_co_ci_u32_e64 v22, null, s13, v22, s3
	s_or_b32 s33, vcc_lo, s33
	s_wait_loadcnt_dscnt 0x0
	v_mul_f64_e32 v[40:41], v[34:35], v[38:39]
	v_mul_f64_e32 v[38:39], v[32:33], v[38:39]
	s_delay_alu instid0(VALU_DEP_2) | instskip(NEXT) | instid1(VALU_DEP_2)
	v_fma_f64 v[32:33], v[32:33], v[36:37], -v[40:41]
	v_fma_f64 v[34:35], v[34:35], v[36:37], v[38:39]
	s_delay_alu instid0(VALU_DEP_2) | instskip(NEXT) | instid1(VALU_DEP_2)
	v_add_f64_e32 v[4:5], v[4:5], v[32:33]
	v_add_f64_e32 v[6:7], v[6:7], v[34:35]
	s_and_not1_b32 exec_lo, exec_lo, s33
	s_cbranch_execnz .LBB22_11
; %bb.12:                               ;   in Loop: Header=BB22_5 Depth=1
	s_or_b32 exec_lo, exec_lo, s33
.LBB22_13:                              ;   in Loop: Header=BB22_5 Depth=1
	s_delay_alu instid0(SALU_CYCLE_1)
	s_or_b32 exec_lo, exec_lo, s31
	s_mov_b32 s31, 0
.LBB22_14:                              ;   in Loop: Header=BB22_5 Depth=1
	s_delay_alu instid0(SALU_CYCLE_1)
	s_and_b32 vcc_lo, exec_lo, s31
	s_wait_alu 0xfffe
	s_cbranch_vccz .LBB22_3
; %bb.15:                               ;   in Loop: Header=BB22_5 Depth=1
	s_and_not1_b32 vcc_lo, exec_lo, s18
	s_wait_alu 0xfffe
	s_cbranch_vccnz .LBB22_17
; %bb.16:                               ;   in Loop: Header=BB22_5 Depth=1
	v_add_co_u32 v4, vcc_lo, s26, v17
	s_wait_alu 0xfffd
	v_add_co_ci_u32_e64 v5, null, s27, v18, vcc_lo
	s_delay_alu instid0(VALU_DEP_2) | instskip(SKIP_1) | instid1(VALU_DEP_2)
	v_add_co_u32 v4, vcc_lo, v4, v11
	s_wait_alu 0xfffd
	v_add_co_ci_u32_e64 v5, null, v5, v12, vcc_lo
	flat_load_b128 v[4:7], v[4:5]
	s_wait_loadcnt_dscnt 0x0
	v_mul_f64_e32 v[19:20], v[2:3], v[6:7]
	v_mul_f64_e32 v[6:7], v[0:1], v[6:7]
	s_delay_alu instid0(VALU_DEP_2) | instskip(NEXT) | instid1(VALU_DEP_2)
	v_fma_f64 v[0:1], v[0:1], v[4:5], -v[19:20]
	v_fma_f64 v[2:3], v[2:3], v[4:5], v[6:7]
.LBB22_17:                              ;   in Loop: Header=BB22_5 Depth=1
	s_and_saveexec_b32 s26, s1
	s_cbranch_execz .LBB22_2
; %bb.18:                               ;   in Loop: Header=BB22_5 Depth=1
	v_add_co_u32 v4, vcc_lo, s24, v29
	s_wait_alu 0xfffd
	v_add_co_ci_u32_e64 v5, null, s25, v28, vcc_lo
	v_mov_b32_e32 v6, v8
	s_add_nc_u64 s[22:23], s[22:23], s[20:21]
	s_mov_b32 s24, 0
.LBB22_19:                              ;   Parent Loop BB22_5 Depth=1
                                        ; =>  This Inner Loop Header: Depth=2
	s_wait_alu 0xfffe
	v_dual_mov_b32 v32, s23 :: v_dual_mov_b32 v31, s22
	v_add_nc_u32_e32 v6, -1, v6
	s_add_nc_u64 s[22:23], s[22:23], s[12:13]
	flat_load_b128 v[19:22], v[4:5] offset:-8
	flat_load_b128 v[31:34], v[31:32] offset:-8
	v_add_co_u32 v4, s3, v4, 16
	v_cmp_eq_u32_e32 vcc_lo, 0, v6
	s_wait_alu 0xf1ff
	v_add_co_ci_u32_e64 v5, null, 0, v5, s3
	s_or_b32 s24, vcc_lo, s24
	s_wait_loadcnt_dscnt 0x0
	v_mul_f64_e32 v[35:36], v[33:34], v[21:22]
	v_mul_f64_e32 v[21:22], v[31:32], v[21:22]
	s_delay_alu instid0(VALU_DEP_2) | instskip(NEXT) | instid1(VALU_DEP_2)
	v_fma_f64 v[31:32], v[31:32], v[19:20], -v[35:36]
	v_fma_f64 v[19:20], v[33:34], v[19:20], v[21:22]
	s_delay_alu instid0(VALU_DEP_2) | instskip(NEXT) | instid1(VALU_DEP_2)
	v_add_f64_e32 v[0:1], v[0:1], v[31:32]
	v_add_f64_e32 v[2:3], v[2:3], v[19:20]
	s_wait_alu 0xfffe
	s_and_not1_b32 exec_lo, exec_lo, s24
	s_cbranch_execnz .LBB22_19
; %bb.20:                               ;   in Loop: Header=BB22_5 Depth=1
	s_or_b32 exec_lo, exec_lo, s24
	s_branch .LBB22_2
.LBB22_21:
	s_endpgm
	.section	.rodata,"a",@progbits
	.p2align	6, 0x0
	.amdhsa_kernel _ZL20rocblas_tpmvt_kernelILi512EPKPK19rocblas_complex_numIdEPKPS1_S6_EvbbiT0_llT1_lllT2_li
		.amdhsa_group_segment_fixed_size 0
		.amdhsa_private_segment_fixed_size 0
		.amdhsa_kernarg_size 344
		.amdhsa_user_sgpr_count 2
		.amdhsa_user_sgpr_dispatch_ptr 0
		.amdhsa_user_sgpr_queue_ptr 0
		.amdhsa_user_sgpr_kernarg_segment_ptr 1
		.amdhsa_user_sgpr_dispatch_id 0
		.amdhsa_user_sgpr_private_segment_size 0
		.amdhsa_wavefront_size32 1
		.amdhsa_uses_dynamic_stack 0
		.amdhsa_enable_private_segment 0
		.amdhsa_system_sgpr_workgroup_id_x 1
		.amdhsa_system_sgpr_workgroup_id_y 0
		.amdhsa_system_sgpr_workgroup_id_z 1
		.amdhsa_system_sgpr_workgroup_info 0
		.amdhsa_system_vgpr_workitem_id 0
		.amdhsa_next_free_vgpr 42
		.amdhsa_next_free_sgpr 34
		.amdhsa_reserve_vcc 1
		.amdhsa_float_round_mode_32 0
		.amdhsa_float_round_mode_16_64 0
		.amdhsa_float_denorm_mode_32 3
		.amdhsa_float_denorm_mode_16_64 3
		.amdhsa_fp16_overflow 0
		.amdhsa_workgroup_processor_mode 1
		.amdhsa_memory_ordered 1
		.amdhsa_forward_progress 1
		.amdhsa_inst_pref_size 12
		.amdhsa_round_robin_scheduling 0
		.amdhsa_exception_fp_ieee_invalid_op 0
		.amdhsa_exception_fp_denorm_src 0
		.amdhsa_exception_fp_ieee_div_zero 0
		.amdhsa_exception_fp_ieee_overflow 0
		.amdhsa_exception_fp_ieee_underflow 0
		.amdhsa_exception_fp_ieee_inexact 0
		.amdhsa_exception_int_div_zero 0
	.end_amdhsa_kernel
	.section	.text._ZL20rocblas_tpmvt_kernelILi512EPKPK19rocblas_complex_numIdEPKPS1_S6_EvbbiT0_llT1_lllT2_li,"axG",@progbits,_ZL20rocblas_tpmvt_kernelILi512EPKPK19rocblas_complex_numIdEPKPS1_S6_EvbbiT0_llT1_lllT2_li,comdat
.Lfunc_end22:
	.size	_ZL20rocblas_tpmvt_kernelILi512EPKPK19rocblas_complex_numIdEPKPS1_S6_EvbbiT0_llT1_lllT2_li, .Lfunc_end22-_ZL20rocblas_tpmvt_kernelILi512EPKPK19rocblas_complex_numIdEPKPS1_S6_EvbbiT0_llT1_lllT2_li
                                        ; -- End function
	.set _ZL20rocblas_tpmvt_kernelILi512EPKPK19rocblas_complex_numIdEPKPS1_S6_EvbbiT0_llT1_lllT2_li.num_vgpr, 42
	.set _ZL20rocblas_tpmvt_kernelILi512EPKPK19rocblas_complex_numIdEPKPS1_S6_EvbbiT0_llT1_lllT2_li.num_agpr, 0
	.set _ZL20rocblas_tpmvt_kernelILi512EPKPK19rocblas_complex_numIdEPKPS1_S6_EvbbiT0_llT1_lllT2_li.numbered_sgpr, 34
	.set _ZL20rocblas_tpmvt_kernelILi512EPKPK19rocblas_complex_numIdEPKPS1_S6_EvbbiT0_llT1_lllT2_li.num_named_barrier, 0
	.set _ZL20rocblas_tpmvt_kernelILi512EPKPK19rocblas_complex_numIdEPKPS1_S6_EvbbiT0_llT1_lllT2_li.private_seg_size, 0
	.set _ZL20rocblas_tpmvt_kernelILi512EPKPK19rocblas_complex_numIdEPKPS1_S6_EvbbiT0_llT1_lllT2_li.uses_vcc, 1
	.set _ZL20rocblas_tpmvt_kernelILi512EPKPK19rocblas_complex_numIdEPKPS1_S6_EvbbiT0_llT1_lllT2_li.uses_flat_scratch, 0
	.set _ZL20rocblas_tpmvt_kernelILi512EPKPK19rocblas_complex_numIdEPKPS1_S6_EvbbiT0_llT1_lllT2_li.has_dyn_sized_stack, 0
	.set _ZL20rocblas_tpmvt_kernelILi512EPKPK19rocblas_complex_numIdEPKPS1_S6_EvbbiT0_llT1_lllT2_li.has_recursion, 0
	.set _ZL20rocblas_tpmvt_kernelILi512EPKPK19rocblas_complex_numIdEPKPS1_S6_EvbbiT0_llT1_lllT2_li.has_indirect_call, 0
	.section	.AMDGPU.csdata,"",@progbits
; Kernel info:
; codeLenInByte = 1424
; TotalNumSgprs: 36
; NumVgprs: 42
; ScratchSize: 0
; MemoryBound: 0
; FloatMode: 240
; IeeeMode: 1
; LDSByteSize: 0 bytes/workgroup (compile time only)
; SGPRBlocks: 0
; VGPRBlocks: 5
; NumSGPRsForWavesPerEU: 36
; NumVGPRsForWavesPerEU: 42
; Occupancy: 16
; WaveLimiterHint : 1
; COMPUTE_PGM_RSRC2:SCRATCH_EN: 0
; COMPUTE_PGM_RSRC2:USER_SGPR: 2
; COMPUTE_PGM_RSRC2:TRAP_HANDLER: 0
; COMPUTE_PGM_RSRC2:TGID_X_EN: 1
; COMPUTE_PGM_RSRC2:TGID_Y_EN: 0
; COMPUTE_PGM_RSRC2:TGID_Z_EN: 1
; COMPUTE_PGM_RSRC2:TIDIG_COMP_CNT: 0
	.section	.text._ZL20rocblas_tpmvc_kernelILi512EPKPK19rocblas_complex_numIdEPKPS1_S6_EvbbiT0_llT1_lllT2_li,"axG",@progbits,_ZL20rocblas_tpmvc_kernelILi512EPKPK19rocblas_complex_numIdEPKPS1_S6_EvbbiT0_llT1_lllT2_li,comdat
	.globl	_ZL20rocblas_tpmvc_kernelILi512EPKPK19rocblas_complex_numIdEPKPS1_S6_EvbbiT0_llT1_lllT2_li ; -- Begin function _ZL20rocblas_tpmvc_kernelILi512EPKPK19rocblas_complex_numIdEPKPS1_S6_EvbbiT0_llT1_lllT2_li
	.p2align	8
	.type	_ZL20rocblas_tpmvc_kernelILi512EPKPK19rocblas_complex_numIdEPKPS1_S6_EvbbiT0_llT1_lllT2_li,@function
_ZL20rocblas_tpmvc_kernelILi512EPKPK19rocblas_complex_numIdEPKPS1_S6_EvbbiT0_llT1_lllT2_li: ; @_ZL20rocblas_tpmvc_kernelILi512EPKPK19rocblas_complex_numIdEPKPS1_S6_EvbbiT0_llT1_lllT2_li
; %bb.0:
	s_load_b32 s28, s[0:1], 0x50
	s_lshr_b32 s16, ttmp7, 16
	s_wait_kmcnt 0x0
	s_cmp_ge_u32 s16, s28
	s_cbranch_scc1 .LBB23_21
; %bb.1:
	s_clause 0x6
	s_load_b32 s2, s[0:1], 0x0
	s_load_b64 s[18:19], s[0:1], 0x0
	s_load_b32 s3, s[0:1], 0x64
	s_load_b128 s[4:7], s[0:1], 0x8
	s_load_b64 s[20:21], s[0:1], 0x30
	s_load_b128 s[8:11], s[0:1], 0x20
	s_load_b128 s[12:15], s[0:1], 0x40
	s_mov_b32 s17, 0
	s_wait_kmcnt 0x0
	s_bitcmp1_b32 s2, 0
	s_mov_b32 s0, s19
	s_cselect_b32 s2, -1, 0
	s_delay_alu instid0(SALU_CYCLE_1)
	s_xor_b32 s29, s2, -1
	s_bitcmp1_b32 s18, 8
	s_cselect_b32 s18, -1, 0
	s_and_b32 s2, s3, 0xffff
	s_ashr_i32 s1, s19, 31
	v_mad_co_u64_u32 v[8:9], null, ttmp9, s2, v[0:1]
	s_lshl_b64 s[0:1], s[0:1], 4
	s_lshl_b64 s[6:7], s[6:7], 4
	s_wait_alu 0xfffe
	s_add_nc_u64 s[22:23], s[0:1], -16
	s_lshl_b64 s[10:11], s[10:11], 4
	s_xor_b32 s18, s18, -1
	v_ashrrev_i32_e32 v9, 31, v8
	v_add_co_u32 v11, vcc_lo, v8, -1
	v_add_nc_u32_e32 v10, 1, v8
	v_mul_lo_u32 v19, s21, v8
	s_delay_alu instid0(VALU_DEP_4) | instskip(NEXT) | instid1(VALU_DEP_4)
	v_add_co_ci_u32_e64 v14, null, -1, v9, vcc_lo
	v_mul_lo_u32 v16, v11, v9
	s_delay_alu instid0(VALU_DEP_4) | instskip(SKIP_1) | instid1(VALU_DEP_4)
	v_mad_co_u64_u32 v[6:7], null, v10, v8, 0
	v_mad_co_u64_u32 v[12:13], null, v11, v8, 0
	v_mul_lo_u32 v17, v14, v8
	v_mad_co_u64_u32 v[0:1], null, s20, v8, 0
	v_mul_lo_u32 v20, s20, v9
	v_mad_co_i64_i32 v[2:3], null, v8, s19, 0
	v_mul_lo_u32 v21, s23, v8
	v_mad_co_u64_u32 v[4:5], null, s22, v8, s[6:7]
	v_add3_u32 v13, v13, v16, v17
	v_mad_co_u64_u32 v[16:17], null, v10, v9, v[7:8]
	v_mul_lo_u32 v22, s22, v9
	v_add3_u32 v1, v1, v20, v19
	v_cmp_gt_i32_e64 s0, s19, v8
	v_cmp_lt_i32_e64 s1, 0, v8
	v_cndmask_b32_e64 v30, 0, 1, s18
	v_mov_b32_e32 v7, v16
	v_ashrrev_i32_e32 v11, 31, v10
	v_mad_co_i64_i32 v[14:15], null, v10, v8, 0
	v_mul_lo_u32 v23, s21, v10
	v_add3_u32 v5, v21, v5, v22
	s_delay_alu instid0(VALU_DEP_4)
	v_lshlrev_b64_e32 v[17:18], 4, v[10:11]
	v_mul_lo_u32 v24, s20, v11
	v_lshrrev_b64 v[11:12], 1, v[12:13]
	v_cmp_gt_i32_e64 s2, s19, v10
	v_lshrrev_b64 v[19:20], 1, v[14:15]
	v_mad_co_u64_u32 v[15:16], null, s20, v10, 0
	s_delay_alu instid0(VALU_DEP_4)
	v_sub_co_u32 v2, vcc_lo, v2, v11
	v_lshlrev_b64_e32 v[13:14], 4, v[11:12]
	s_wait_alu 0xfffd
	v_sub_co_ci_u32_e64 v3, null, v3, v12, vcc_lo
	v_add_co_u32 v4, vcc_lo, v4, v17
	s_wait_alu 0xfffd
	v_add_co_ci_u32_e64 v17, null, v5, v18, vcc_lo
	v_add3_u32 v16, v16, v24, v23
	s_delay_alu instid0(VALU_DEP_3) | instskip(SKIP_2) | instid1(VALU_DEP_4)
	v_sub_co_u32 v13, vcc_lo, v4, v13
	v_lshlrev_b64_e32 v[4:5], 3, v[6:7]
	v_lshlrev_b64_e32 v[11:12], 4, v[8:9]
	;; [unrolled: 1-line block ×3, first 2 shown]
	s_wait_alu 0xfffd
	v_sub_co_ci_u32_e64 v24, null, v17, v14, vcc_lo
	v_or_b32_e32 v25, 8, v13
	v_and_b32_e32 v4, -16, v4
	v_add_co_u32 v9, s3, s12, v11
	s_wait_alu 0xf1ff
	v_add_co_ci_u32_e64 v23, null, s13, v12, s3
	v_add_co_u32 v6, vcc_lo, v6, s10
	v_add_co_u32 v4, s3, s6, v4
	v_lshlrev_b64_e32 v[13:14], 4, v[0:1]
	v_lshlrev_b64_e32 v[15:16], 4, v[2:3]
	;; [unrolled: 1-line block ×3, first 2 shown]
	s_wait_alu 0xfffd
	v_add_co_ci_u32_e64 v26, null, s11, v7, vcc_lo
	v_or_b32_e32 v27, 8, v6
	s_wait_alu 0xf1ff
	v_add_co_ci_u32_e64 v28, null, s7, v5, s3
	v_or_b32_e32 v29, 8, v4
	s_lshl_b64 s[12:13], s[20:21], 4
	s_or_b32 s20, s10, 8
	s_mov_b32 s21, s11
	s_branch .LBB23_5
.LBB23_2:                               ;   in Loop: Header=BB23_5 Depth=1
	s_wait_alu 0xfffe
	s_or_b32 exec_lo, exec_lo, s26
	s_wait_loadcnt_dscnt 0x0
	s_delay_alu instid0(VALU_DEP_1) | instskip(NEXT) | instid1(VALU_DEP_3)
	v_dual_mov_b32 v7, v3 :: v_dual_mov_b32 v6, v2
	v_dual_mov_b32 v5, v1 :: v_dual_mov_b32 v4, v0
.LBB23_3:                               ;   in Loop: Header=BB23_5 Depth=1
	s_mul_u64 s[22:23], s[14:15], s[16:17]
	s_wait_alu 0xfffe
	s_lshl_b64 s[22:23], s[22:23], 4
	s_wait_loadcnt_dscnt 0x0
	s_wait_alu 0xfffe
	v_add_co_u32 v0, vcc_lo, v9, s22
	s_wait_alu 0xfffd
	v_add_co_ci_u32_e64 v1, null, s23, v23, vcc_lo
	global_store_b128 v[0:1], v[4:7], off
.LBB23_4:                               ;   in Loop: Header=BB23_5 Depth=1
	s_or_b32 exec_lo, exec_lo, s30
	s_add_co_i32 s16, s16, 0x10000
	s_delay_alu instid0(SALU_CYCLE_1)
	s_cmp_lt_u32 s16, s28
	s_cbranch_scc0 .LBB23_21
.LBB23_5:                               ; =>This Loop Header: Depth=1
                                        ;     Child Loop BB23_11 Depth 2
                                        ;     Child Loop BB23_19 Depth 2
	s_and_saveexec_b32 s30, s0
	s_cbranch_execz .LBB23_4
; %bb.6:                                ;   in Loop: Header=BB23_5 Depth=1
	s_lshl_b64 s[24:25], s[16:17], 3
	v_cmp_ne_u32_e64 s3, 1, v30
	s_wait_alu 0xfffe
	s_add_nc_u64 s[22:23], s[8:9], s[24:25]
	s_add_nc_u64 s[24:25], s[4:5], s[24:25]
	s_load_b64 s[22:23], s[22:23], 0x0
	s_load_b64 s[24:25], s[24:25], 0x0
	s_mov_b32 s31, -1
                                        ; implicit-def: $vgpr6_vgpr7
	s_wait_kmcnt 0x0
	s_add_nc_u64 s[26:27], s[22:23], s[10:11]
	s_wait_alu 0xfffe
	v_add_co_u32 v0, vcc_lo, s26, v13
	s_wait_alu 0xfffd
	v_add_co_ci_u32_e64 v1, null, s27, v14, vcc_lo
	s_add_nc_u64 s[26:27], s[24:25], s[6:7]
	s_and_b32 vcc_lo, exec_lo, s29
	flat_load_b128 v[0:3], v[0:1]
	s_wait_alu 0xfffe
	s_cbranch_vccz .LBB23_14
; %bb.7:                                ;   in Loop: Header=BB23_5 Depth=1
	s_wait_loadcnt_dscnt 0x0
	v_dual_mov_b32 v5, v1 :: v_dual_mov_b32 v4, v0
	v_dual_mov_b32 v7, v3 :: v_dual_mov_b32 v6, v2
	s_and_b32 vcc_lo, exec_lo, s3
	s_wait_alu 0xfffe
	s_cbranch_vccnz .LBB23_9
; %bb.8:                                ;   in Loop: Header=BB23_5 Depth=1
	v_add_co_u32 v4, vcc_lo, s26, v15
	s_wait_alu 0xfffd
	v_add_co_ci_u32_e64 v5, null, s27, v16, vcc_lo
	flat_load_b128 v[19:22], v[4:5]
	s_wait_loadcnt_dscnt 0x0
	v_mul_f64_e32 v[4:5], v[2:3], v[21:22]
	v_mul_f64_e32 v[6:7], v[0:1], v[21:22]
	s_delay_alu instid0(VALU_DEP_2) | instskip(NEXT) | instid1(VALU_DEP_2)
	v_fma_f64 v[4:5], v[0:1], v[19:20], v[4:5]
	v_fma_f64 v[6:7], v[2:3], v[19:20], -v[6:7]
.LBB23_9:                               ;   in Loop: Header=BB23_5 Depth=1
	s_and_saveexec_b32 s31, s2
	s_cbranch_execz .LBB23_13
; %bb.10:                               ;   in Loop: Header=BB23_5 Depth=1
	v_add_co_u32 v19, vcc_lo, s24, v25
	s_wait_alu 0xfffd
	v_add_co_ci_u32_e64 v20, null, s25, v24, vcc_lo
	v_add_co_u32 v21, vcc_lo, s22, v27
	s_wait_alu 0xfffd
	v_add_co_ci_u32_e64 v22, null, s23, v26, vcc_lo
	v_mov_b32_e32 v31, v10
	s_mov_b32 s33, 0
.LBB23_11:                              ;   Parent Loop BB23_5 Depth=1
                                        ; =>  This Inner Loop Header: Depth=2
	flat_load_b128 v[32:35], v[19:20] offset:-8
	flat_load_b128 v[36:39], v[21:22] offset:-8
	v_add_nc_u32_e32 v31, 1, v31
	v_add_co_u32 v19, vcc_lo, v19, 16
	s_wait_alu 0xfffd
	v_add_co_ci_u32_e64 v20, null, 0, v20, vcc_lo
	s_delay_alu instid0(VALU_DEP_3)
	v_cmp_le_i32_e32 vcc_lo, s19, v31
	v_add_co_u32 v21, s3, v21, s12
	s_wait_alu 0xf1ff
	v_add_co_ci_u32_e64 v22, null, s13, v22, s3
	s_or_b32 s33, vcc_lo, s33
	s_wait_loadcnt_dscnt 0x0
	v_mul_f64_e32 v[40:41], v[34:35], v[38:39]
	v_mul_f64_e32 v[34:35], v[34:35], v[36:37]
	s_delay_alu instid0(VALU_DEP_2) | instskip(NEXT) | instid1(VALU_DEP_2)
	v_fma_f64 v[36:37], v[32:33], v[36:37], v[40:41]
	v_fma_f64 v[32:33], v[32:33], v[38:39], -v[34:35]
	s_delay_alu instid0(VALU_DEP_2) | instskip(NEXT) | instid1(VALU_DEP_2)
	v_add_f64_e32 v[4:5], v[4:5], v[36:37]
	v_add_f64_e32 v[6:7], v[6:7], v[32:33]
	s_and_not1_b32 exec_lo, exec_lo, s33
	s_cbranch_execnz .LBB23_11
; %bb.12:                               ;   in Loop: Header=BB23_5 Depth=1
	s_or_b32 exec_lo, exec_lo, s33
.LBB23_13:                              ;   in Loop: Header=BB23_5 Depth=1
	s_delay_alu instid0(SALU_CYCLE_1)
	s_or_b32 exec_lo, exec_lo, s31
	s_mov_b32 s31, 0
.LBB23_14:                              ;   in Loop: Header=BB23_5 Depth=1
	s_delay_alu instid0(SALU_CYCLE_1)
	s_and_b32 vcc_lo, exec_lo, s31
	s_wait_alu 0xfffe
	s_cbranch_vccz .LBB23_3
; %bb.15:                               ;   in Loop: Header=BB23_5 Depth=1
	s_and_not1_b32 vcc_lo, exec_lo, s18
	s_wait_alu 0xfffe
	s_cbranch_vccnz .LBB23_17
; %bb.16:                               ;   in Loop: Header=BB23_5 Depth=1
	v_add_co_u32 v4, vcc_lo, s26, v17
	s_wait_alu 0xfffd
	v_add_co_ci_u32_e64 v5, null, s27, v18, vcc_lo
	s_delay_alu instid0(VALU_DEP_2) | instskip(SKIP_1) | instid1(VALU_DEP_2)
	v_add_co_u32 v4, vcc_lo, v4, v11
	s_wait_alu 0xfffd
	v_add_co_ci_u32_e64 v5, null, v5, v12, vcc_lo
	flat_load_b128 v[4:7], v[4:5]
	s_wait_loadcnt_dscnt 0x0
	v_mul_f64_e32 v[19:20], v[2:3], v[6:7]
	v_mul_f64_e32 v[6:7], v[0:1], v[6:7]
	s_delay_alu instid0(VALU_DEP_2) | instskip(NEXT) | instid1(VALU_DEP_2)
	v_fma_f64 v[0:1], v[0:1], v[4:5], v[19:20]
	v_fma_f64 v[2:3], v[2:3], v[4:5], -v[6:7]
.LBB23_17:                              ;   in Loop: Header=BB23_5 Depth=1
	s_and_saveexec_b32 s26, s1
	s_cbranch_execz .LBB23_2
; %bb.18:                               ;   in Loop: Header=BB23_5 Depth=1
	v_add_co_u32 v4, vcc_lo, s24, v29
	s_wait_alu 0xfffd
	v_add_co_ci_u32_e64 v5, null, s25, v28, vcc_lo
	v_mov_b32_e32 v6, v8
	s_add_nc_u64 s[22:23], s[22:23], s[20:21]
	s_mov_b32 s24, 0
.LBB23_19:                              ;   Parent Loop BB23_5 Depth=1
                                        ; =>  This Inner Loop Header: Depth=2
	s_wait_alu 0xfffe
	v_dual_mov_b32 v32, s23 :: v_dual_mov_b32 v31, s22
	v_add_nc_u32_e32 v6, -1, v6
	s_add_nc_u64 s[22:23], s[22:23], s[12:13]
	flat_load_b128 v[19:22], v[4:5] offset:-8
	flat_load_b128 v[31:34], v[31:32] offset:-8
	v_add_co_u32 v4, s3, v4, 16
	v_cmp_eq_u32_e32 vcc_lo, 0, v6
	s_wait_alu 0xf1ff
	v_add_co_ci_u32_e64 v5, null, 0, v5, s3
	s_or_b32 s24, vcc_lo, s24
	s_wait_loadcnt_dscnt 0x0
	v_mul_f64_e32 v[35:36], v[21:22], v[33:34]
	v_mul_f64_e32 v[21:22], v[21:22], v[31:32]
	s_delay_alu instid0(VALU_DEP_2) | instskip(NEXT) | instid1(VALU_DEP_2)
	v_fma_f64 v[31:32], v[19:20], v[31:32], v[35:36]
	v_fma_f64 v[19:20], v[19:20], v[33:34], -v[21:22]
	s_delay_alu instid0(VALU_DEP_2) | instskip(NEXT) | instid1(VALU_DEP_2)
	v_add_f64_e32 v[0:1], v[0:1], v[31:32]
	v_add_f64_e32 v[2:3], v[2:3], v[19:20]
	s_wait_alu 0xfffe
	s_and_not1_b32 exec_lo, exec_lo, s24
	s_cbranch_execnz .LBB23_19
; %bb.20:                               ;   in Loop: Header=BB23_5 Depth=1
	s_or_b32 exec_lo, exec_lo, s24
	s_branch .LBB23_2
.LBB23_21:
	s_endpgm
	.section	.rodata,"a",@progbits
	.p2align	6, 0x0
	.amdhsa_kernel _ZL20rocblas_tpmvc_kernelILi512EPKPK19rocblas_complex_numIdEPKPS1_S6_EvbbiT0_llT1_lllT2_li
		.amdhsa_group_segment_fixed_size 0
		.amdhsa_private_segment_fixed_size 0
		.amdhsa_kernarg_size 344
		.amdhsa_user_sgpr_count 2
		.amdhsa_user_sgpr_dispatch_ptr 0
		.amdhsa_user_sgpr_queue_ptr 0
		.amdhsa_user_sgpr_kernarg_segment_ptr 1
		.amdhsa_user_sgpr_dispatch_id 0
		.amdhsa_user_sgpr_private_segment_size 0
		.amdhsa_wavefront_size32 1
		.amdhsa_uses_dynamic_stack 0
		.amdhsa_enable_private_segment 0
		.amdhsa_system_sgpr_workgroup_id_x 1
		.amdhsa_system_sgpr_workgroup_id_y 0
		.amdhsa_system_sgpr_workgroup_id_z 1
		.amdhsa_system_sgpr_workgroup_info 0
		.amdhsa_system_vgpr_workitem_id 0
		.amdhsa_next_free_vgpr 42
		.amdhsa_next_free_sgpr 34
		.amdhsa_reserve_vcc 1
		.amdhsa_float_round_mode_32 0
		.amdhsa_float_round_mode_16_64 0
		.amdhsa_float_denorm_mode_32 3
		.amdhsa_float_denorm_mode_16_64 3
		.amdhsa_fp16_overflow 0
		.amdhsa_workgroup_processor_mode 1
		.amdhsa_memory_ordered 1
		.amdhsa_forward_progress 1
		.amdhsa_inst_pref_size 12
		.amdhsa_round_robin_scheduling 0
		.amdhsa_exception_fp_ieee_invalid_op 0
		.amdhsa_exception_fp_denorm_src 0
		.amdhsa_exception_fp_ieee_div_zero 0
		.amdhsa_exception_fp_ieee_overflow 0
		.amdhsa_exception_fp_ieee_underflow 0
		.amdhsa_exception_fp_ieee_inexact 0
		.amdhsa_exception_int_div_zero 0
	.end_amdhsa_kernel
	.section	.text._ZL20rocblas_tpmvc_kernelILi512EPKPK19rocblas_complex_numIdEPKPS1_S6_EvbbiT0_llT1_lllT2_li,"axG",@progbits,_ZL20rocblas_tpmvc_kernelILi512EPKPK19rocblas_complex_numIdEPKPS1_S6_EvbbiT0_llT1_lllT2_li,comdat
.Lfunc_end23:
	.size	_ZL20rocblas_tpmvc_kernelILi512EPKPK19rocblas_complex_numIdEPKPS1_S6_EvbbiT0_llT1_lllT2_li, .Lfunc_end23-_ZL20rocblas_tpmvc_kernelILi512EPKPK19rocblas_complex_numIdEPKPS1_S6_EvbbiT0_llT1_lllT2_li
                                        ; -- End function
	.set _ZL20rocblas_tpmvc_kernelILi512EPKPK19rocblas_complex_numIdEPKPS1_S6_EvbbiT0_llT1_lllT2_li.num_vgpr, 42
	.set _ZL20rocblas_tpmvc_kernelILi512EPKPK19rocblas_complex_numIdEPKPS1_S6_EvbbiT0_llT1_lllT2_li.num_agpr, 0
	.set _ZL20rocblas_tpmvc_kernelILi512EPKPK19rocblas_complex_numIdEPKPS1_S6_EvbbiT0_llT1_lllT2_li.numbered_sgpr, 34
	.set _ZL20rocblas_tpmvc_kernelILi512EPKPK19rocblas_complex_numIdEPKPS1_S6_EvbbiT0_llT1_lllT2_li.num_named_barrier, 0
	.set _ZL20rocblas_tpmvc_kernelILi512EPKPK19rocblas_complex_numIdEPKPS1_S6_EvbbiT0_llT1_lllT2_li.private_seg_size, 0
	.set _ZL20rocblas_tpmvc_kernelILi512EPKPK19rocblas_complex_numIdEPKPS1_S6_EvbbiT0_llT1_lllT2_li.uses_vcc, 1
	.set _ZL20rocblas_tpmvc_kernelILi512EPKPK19rocblas_complex_numIdEPKPS1_S6_EvbbiT0_llT1_lllT2_li.uses_flat_scratch, 0
	.set _ZL20rocblas_tpmvc_kernelILi512EPKPK19rocblas_complex_numIdEPKPS1_S6_EvbbiT0_llT1_lllT2_li.has_dyn_sized_stack, 0
	.set _ZL20rocblas_tpmvc_kernelILi512EPKPK19rocblas_complex_numIdEPKPS1_S6_EvbbiT0_llT1_lllT2_li.has_recursion, 0
	.set _ZL20rocblas_tpmvc_kernelILi512EPKPK19rocblas_complex_numIdEPKPS1_S6_EvbbiT0_llT1_lllT2_li.has_indirect_call, 0
	.section	.AMDGPU.csdata,"",@progbits
; Kernel info:
; codeLenInByte = 1424
; TotalNumSgprs: 36
; NumVgprs: 42
; ScratchSize: 0
; MemoryBound: 0
; FloatMode: 240
; IeeeMode: 1
; LDSByteSize: 0 bytes/workgroup (compile time only)
; SGPRBlocks: 0
; VGPRBlocks: 5
; NumSGPRsForWavesPerEU: 36
; NumVGPRsForWavesPerEU: 42
; Occupancy: 16
; WaveLimiterHint : 1
; COMPUTE_PGM_RSRC2:SCRATCH_EN: 0
; COMPUTE_PGM_RSRC2:USER_SGPR: 2
; COMPUTE_PGM_RSRC2:TRAP_HANDLER: 0
; COMPUTE_PGM_RSRC2:TGID_X_EN: 1
; COMPUTE_PGM_RSRC2:TGID_Y_EN: 0
; COMPUTE_PGM_RSRC2:TGID_Z_EN: 1
; COMPUTE_PGM_RSRC2:TIDIG_COMP_CNT: 0
	.section	.AMDGPU.gpr_maximums,"",@progbits
	.set amdgpu.max_num_vgpr, 0
	.set amdgpu.max_num_agpr, 0
	.set amdgpu.max_num_sgpr, 0
	.section	.AMDGPU.csdata,"",@progbits
	.type	__hip_cuid_c2b561db7fd24b11,@object ; @__hip_cuid_c2b561db7fd24b11
	.section	.bss,"aw",@nobits
	.globl	__hip_cuid_c2b561db7fd24b11
__hip_cuid_c2b561db7fd24b11:
	.byte	0                               ; 0x0
	.size	__hip_cuid_c2b561db7fd24b11, 1

	.ident	"AMD clang version 22.0.0git (https://github.com/RadeonOpenCompute/llvm-project roc-7.2.4 26084 f58b06dce1f9c15707c5f808fd002e18c2accf7e)"
	.section	".note.GNU-stack","",@progbits
	.addrsig
	.addrsig_sym __hip_cuid_c2b561db7fd24b11
	.amdgpu_metadata
---
amdhsa.kernels:
  - .args:
      - .offset:         0
        .size:           1
        .value_kind:     by_value
      - .offset:         1
        .size:           1
        .value_kind:     by_value
      - .offset:         4
        .size:           4
        .value_kind:     by_value
      - .address_space:  global
        .offset:         8
        .size:           8
        .value_kind:     global_buffer
      - .offset:         16
        .size:           8
        .value_kind:     by_value
      - .offset:         24
        .size:           8
        .value_kind:     by_value
      - .address_space:  global
        .offset:         32
        .size:           8
        .value_kind:     global_buffer
      - .offset:         40
        .size:           8
        .value_kind:     by_value
      - .offset:         48
        .size:           8
        .value_kind:     by_value
      - .offset:         56
        .size:           8
        .value_kind:     by_value
      - .address_space:  global
        .offset:         64
        .size:           8
        .value_kind:     global_buffer
      - .offset:         72
        .size:           8
        .value_kind:     by_value
      - .offset:         80
        .size:           4
        .value_kind:     by_value
      - .offset:         88
        .size:           4
        .value_kind:     hidden_block_count_x
      - .offset:         92
        .size:           4
        .value_kind:     hidden_block_count_y
      - .offset:         96
        .size:           4
        .value_kind:     hidden_block_count_z
      - .offset:         100
        .size:           2
        .value_kind:     hidden_group_size_x
      - .offset:         102
        .size:           2
        .value_kind:     hidden_group_size_y
      - .offset:         104
        .size:           2
        .value_kind:     hidden_group_size_z
      - .offset:         106
        .size:           2
        .value_kind:     hidden_remainder_x
      - .offset:         108
        .size:           2
        .value_kind:     hidden_remainder_y
      - .offset:         110
        .size:           2
        .value_kind:     hidden_remainder_z
      - .offset:         128
        .size:           8
        .value_kind:     hidden_global_offset_x
      - .offset:         136
        .size:           8
        .value_kind:     hidden_global_offset_y
      - .offset:         144
        .size:           8
        .value_kind:     hidden_global_offset_z
      - .offset:         152
        .size:           2
        .value_kind:     hidden_grid_dims
    .group_segment_fixed_size: 0
    .kernarg_segment_align: 8
    .kernarg_segment_size: 344
    .language:       OpenCL C
    .language_version:
      - 2
      - 0
    .max_flat_workgroup_size: 512
    .name:           _ZL20rocblas_tpmvn_kernelILi512EPKfPfS2_EvbbiT0_llT1_lllT2_li
    .private_segment_fixed_size: 0
    .sgpr_count:     46
    .sgpr_spill_count: 0
    .symbol:         _ZL20rocblas_tpmvn_kernelILi512EPKfPfS2_EvbbiT0_llT1_lllT2_li.kd
    .uniform_work_group_size: 1
    .uses_dynamic_stack: false
    .vgpr_count:     32
    .vgpr_spill_count: 0
    .wavefront_size: 32
    .workgroup_processor_mode: 1
  - .args:
      - .offset:         0
        .size:           1
        .value_kind:     by_value
      - .offset:         1
        .size:           1
        .value_kind:     by_value
      - .offset:         4
        .size:           4
        .value_kind:     by_value
      - .address_space:  global
        .offset:         8
        .size:           8
        .value_kind:     global_buffer
      - .offset:         16
        .size:           8
        .value_kind:     by_value
      - .offset:         24
        .size:           8
        .value_kind:     by_value
      - .address_space:  global
        .offset:         32
        .size:           8
        .value_kind:     global_buffer
      - .offset:         40
        .size:           8
        .value_kind:     by_value
      - .offset:         48
        .size:           8
        .value_kind:     by_value
      - .offset:         56
        .size:           8
        .value_kind:     by_value
      - .address_space:  global
        .offset:         64
        .size:           8
        .value_kind:     global_buffer
      - .offset:         72
        .size:           8
        .value_kind:     by_value
      - .offset:         80
        .size:           4
        .value_kind:     by_value
      - .offset:         88
        .size:           4
        .value_kind:     hidden_block_count_x
      - .offset:         92
        .size:           4
        .value_kind:     hidden_block_count_y
      - .offset:         96
        .size:           4
        .value_kind:     hidden_block_count_z
      - .offset:         100
        .size:           2
        .value_kind:     hidden_group_size_x
      - .offset:         102
        .size:           2
        .value_kind:     hidden_group_size_y
      - .offset:         104
        .size:           2
        .value_kind:     hidden_group_size_z
      - .offset:         106
        .size:           2
        .value_kind:     hidden_remainder_x
      - .offset:         108
        .size:           2
        .value_kind:     hidden_remainder_y
      - .offset:         110
        .size:           2
        .value_kind:     hidden_remainder_z
      - .offset:         128
        .size:           8
        .value_kind:     hidden_global_offset_x
      - .offset:         136
        .size:           8
        .value_kind:     hidden_global_offset_y
      - .offset:         144
        .size:           8
        .value_kind:     hidden_global_offset_z
      - .offset:         152
        .size:           2
        .value_kind:     hidden_grid_dims
    .group_segment_fixed_size: 0
    .kernarg_segment_align: 8
    .kernarg_segment_size: 344
    .language:       OpenCL C
    .language_version:
      - 2
      - 0
    .max_flat_workgroup_size: 512
    .name:           _ZL20rocblas_tpmvt_kernelILi512EPKfPfS2_EvbbiT0_llT1_lllT2_li
    .private_segment_fixed_size: 0
    .sgpr_count:     38
    .sgpr_spill_count: 0
    .symbol:         _ZL20rocblas_tpmvt_kernelILi512EPKfPfS2_EvbbiT0_llT1_lllT2_li.kd
    .uniform_work_group_size: 1
    .uses_dynamic_stack: false
    .vgpr_count:     29
    .vgpr_spill_count: 0
    .wavefront_size: 32
    .workgroup_processor_mode: 1
  - .args:
      - .offset:         0
        .size:           1
        .value_kind:     by_value
      - .offset:         1
        .size:           1
        .value_kind:     by_value
      - .offset:         4
        .size:           4
        .value_kind:     by_value
      - .address_space:  global
        .offset:         8
        .size:           8
        .value_kind:     global_buffer
      - .offset:         16
        .size:           8
        .value_kind:     by_value
      - .offset:         24
        .size:           8
        .value_kind:     by_value
      - .address_space:  global
        .offset:         32
        .size:           8
        .value_kind:     global_buffer
      - .offset:         40
        .size:           8
        .value_kind:     by_value
      - .offset:         48
        .size:           8
        .value_kind:     by_value
      - .offset:         56
        .size:           8
        .value_kind:     by_value
      - .address_space:  global
        .offset:         64
        .size:           8
        .value_kind:     global_buffer
      - .offset:         72
        .size:           8
        .value_kind:     by_value
      - .offset:         80
        .size:           4
        .value_kind:     by_value
      - .offset:         88
        .size:           4
        .value_kind:     hidden_block_count_x
      - .offset:         92
        .size:           4
        .value_kind:     hidden_block_count_y
      - .offset:         96
        .size:           4
        .value_kind:     hidden_block_count_z
      - .offset:         100
        .size:           2
        .value_kind:     hidden_group_size_x
      - .offset:         102
        .size:           2
        .value_kind:     hidden_group_size_y
      - .offset:         104
        .size:           2
        .value_kind:     hidden_group_size_z
      - .offset:         106
        .size:           2
        .value_kind:     hidden_remainder_x
      - .offset:         108
        .size:           2
        .value_kind:     hidden_remainder_y
      - .offset:         110
        .size:           2
        .value_kind:     hidden_remainder_z
      - .offset:         128
        .size:           8
        .value_kind:     hidden_global_offset_x
      - .offset:         136
        .size:           8
        .value_kind:     hidden_global_offset_y
      - .offset:         144
        .size:           8
        .value_kind:     hidden_global_offset_z
      - .offset:         152
        .size:           2
        .value_kind:     hidden_grid_dims
    .group_segment_fixed_size: 0
    .kernarg_segment_align: 8
    .kernarg_segment_size: 344
    .language:       OpenCL C
    .language_version:
      - 2
      - 0
    .max_flat_workgroup_size: 512
    .name:           _ZL20rocblas_tpmvc_kernelILi512EPKfPfS2_EvbbiT0_llT1_lllT2_li
    .private_segment_fixed_size: 0
    .sgpr_count:     38
    .sgpr_spill_count: 0
    .symbol:         _ZL20rocblas_tpmvc_kernelILi512EPKfPfS2_EvbbiT0_llT1_lllT2_li.kd
    .uniform_work_group_size: 1
    .uses_dynamic_stack: false
    .vgpr_count:     29
    .vgpr_spill_count: 0
    .wavefront_size: 32
    .workgroup_processor_mode: 1
  - .args:
      - .offset:         0
        .size:           1
        .value_kind:     by_value
      - .offset:         1
        .size:           1
        .value_kind:     by_value
      - .offset:         4
        .size:           4
        .value_kind:     by_value
      - .address_space:  global
        .offset:         8
        .size:           8
        .value_kind:     global_buffer
      - .offset:         16
        .size:           8
        .value_kind:     by_value
      - .offset:         24
        .size:           8
        .value_kind:     by_value
      - .address_space:  global
        .offset:         32
        .size:           8
        .value_kind:     global_buffer
      - .offset:         40
        .size:           8
        .value_kind:     by_value
      - .offset:         48
        .size:           8
        .value_kind:     by_value
      - .offset:         56
        .size:           8
        .value_kind:     by_value
      - .address_space:  global
        .offset:         64
        .size:           8
        .value_kind:     global_buffer
      - .offset:         72
        .size:           8
        .value_kind:     by_value
      - .offset:         80
        .size:           4
        .value_kind:     by_value
      - .offset:         88
        .size:           4
        .value_kind:     hidden_block_count_x
      - .offset:         92
        .size:           4
        .value_kind:     hidden_block_count_y
      - .offset:         96
        .size:           4
        .value_kind:     hidden_block_count_z
      - .offset:         100
        .size:           2
        .value_kind:     hidden_group_size_x
      - .offset:         102
        .size:           2
        .value_kind:     hidden_group_size_y
      - .offset:         104
        .size:           2
        .value_kind:     hidden_group_size_z
      - .offset:         106
        .size:           2
        .value_kind:     hidden_remainder_x
      - .offset:         108
        .size:           2
        .value_kind:     hidden_remainder_y
      - .offset:         110
        .size:           2
        .value_kind:     hidden_remainder_z
      - .offset:         128
        .size:           8
        .value_kind:     hidden_global_offset_x
      - .offset:         136
        .size:           8
        .value_kind:     hidden_global_offset_y
      - .offset:         144
        .size:           8
        .value_kind:     hidden_global_offset_z
      - .offset:         152
        .size:           2
        .value_kind:     hidden_grid_dims
    .group_segment_fixed_size: 0
    .kernarg_segment_align: 8
    .kernarg_segment_size: 344
    .language:       OpenCL C
    .language_version:
      - 2
      - 0
    .max_flat_workgroup_size: 512
    .name:           _ZL20rocblas_tpmvn_kernelILi512EPKdPdS2_EvbbiT0_llT1_lllT2_li
    .private_segment_fixed_size: 0
    .sgpr_count:     46
    .sgpr_spill_count: 0
    .symbol:         _ZL20rocblas_tpmvn_kernelILi512EPKdPdS2_EvbbiT0_llT1_lllT2_li.kd
    .uniform_work_group_size: 1
    .uses_dynamic_stack: false
    .vgpr_count:     33
    .vgpr_spill_count: 0
    .wavefront_size: 32
    .workgroup_processor_mode: 1
  - .args:
      - .offset:         0
        .size:           1
        .value_kind:     by_value
      - .offset:         1
        .size:           1
        .value_kind:     by_value
      - .offset:         4
        .size:           4
        .value_kind:     by_value
      - .address_space:  global
        .offset:         8
        .size:           8
        .value_kind:     global_buffer
      - .offset:         16
        .size:           8
        .value_kind:     by_value
      - .offset:         24
        .size:           8
        .value_kind:     by_value
      - .address_space:  global
        .offset:         32
        .size:           8
        .value_kind:     global_buffer
      - .offset:         40
        .size:           8
        .value_kind:     by_value
      - .offset:         48
        .size:           8
        .value_kind:     by_value
      - .offset:         56
        .size:           8
        .value_kind:     by_value
      - .address_space:  global
        .offset:         64
        .size:           8
        .value_kind:     global_buffer
      - .offset:         72
        .size:           8
        .value_kind:     by_value
      - .offset:         80
        .size:           4
        .value_kind:     by_value
      - .offset:         88
        .size:           4
        .value_kind:     hidden_block_count_x
      - .offset:         92
        .size:           4
        .value_kind:     hidden_block_count_y
      - .offset:         96
        .size:           4
        .value_kind:     hidden_block_count_z
      - .offset:         100
        .size:           2
        .value_kind:     hidden_group_size_x
      - .offset:         102
        .size:           2
        .value_kind:     hidden_group_size_y
      - .offset:         104
        .size:           2
        .value_kind:     hidden_group_size_z
      - .offset:         106
        .size:           2
        .value_kind:     hidden_remainder_x
      - .offset:         108
        .size:           2
        .value_kind:     hidden_remainder_y
      - .offset:         110
        .size:           2
        .value_kind:     hidden_remainder_z
      - .offset:         128
        .size:           8
        .value_kind:     hidden_global_offset_x
      - .offset:         136
        .size:           8
        .value_kind:     hidden_global_offset_y
      - .offset:         144
        .size:           8
        .value_kind:     hidden_global_offset_z
      - .offset:         152
        .size:           2
        .value_kind:     hidden_grid_dims
    .group_segment_fixed_size: 0
    .kernarg_segment_align: 8
    .kernarg_segment_size: 344
    .language:       OpenCL C
    .language_version:
      - 2
      - 0
    .max_flat_workgroup_size: 512
    .name:           _ZL20rocblas_tpmvt_kernelILi512EPKdPdS2_EvbbiT0_llT1_lllT2_li
    .private_segment_fixed_size: 0
    .sgpr_count:     38
    .sgpr_spill_count: 0
    .symbol:         _ZL20rocblas_tpmvt_kernelILi512EPKdPdS2_EvbbiT0_llT1_lllT2_li.kd
    .uniform_work_group_size: 1
    .uses_dynamic_stack: false
    .vgpr_count:     33
    .vgpr_spill_count: 0
    .wavefront_size: 32
    .workgroup_processor_mode: 1
  - .args:
      - .offset:         0
        .size:           1
        .value_kind:     by_value
      - .offset:         1
        .size:           1
        .value_kind:     by_value
      - .offset:         4
        .size:           4
        .value_kind:     by_value
      - .address_space:  global
        .offset:         8
        .size:           8
        .value_kind:     global_buffer
      - .offset:         16
        .size:           8
        .value_kind:     by_value
      - .offset:         24
        .size:           8
        .value_kind:     by_value
      - .address_space:  global
        .offset:         32
        .size:           8
        .value_kind:     global_buffer
      - .offset:         40
        .size:           8
        .value_kind:     by_value
      - .offset:         48
        .size:           8
        .value_kind:     by_value
      - .offset:         56
        .size:           8
        .value_kind:     by_value
      - .address_space:  global
        .offset:         64
        .size:           8
        .value_kind:     global_buffer
      - .offset:         72
        .size:           8
        .value_kind:     by_value
      - .offset:         80
        .size:           4
        .value_kind:     by_value
      - .offset:         88
        .size:           4
        .value_kind:     hidden_block_count_x
      - .offset:         92
        .size:           4
        .value_kind:     hidden_block_count_y
      - .offset:         96
        .size:           4
        .value_kind:     hidden_block_count_z
      - .offset:         100
        .size:           2
        .value_kind:     hidden_group_size_x
      - .offset:         102
        .size:           2
        .value_kind:     hidden_group_size_y
      - .offset:         104
        .size:           2
        .value_kind:     hidden_group_size_z
      - .offset:         106
        .size:           2
        .value_kind:     hidden_remainder_x
      - .offset:         108
        .size:           2
        .value_kind:     hidden_remainder_y
      - .offset:         110
        .size:           2
        .value_kind:     hidden_remainder_z
      - .offset:         128
        .size:           8
        .value_kind:     hidden_global_offset_x
      - .offset:         136
        .size:           8
        .value_kind:     hidden_global_offset_y
      - .offset:         144
        .size:           8
        .value_kind:     hidden_global_offset_z
      - .offset:         152
        .size:           2
        .value_kind:     hidden_grid_dims
    .group_segment_fixed_size: 0
    .kernarg_segment_align: 8
    .kernarg_segment_size: 344
    .language:       OpenCL C
    .language_version:
      - 2
      - 0
    .max_flat_workgroup_size: 512
    .name:           _ZL20rocblas_tpmvc_kernelILi512EPKdPdS2_EvbbiT0_llT1_lllT2_li
    .private_segment_fixed_size: 0
    .sgpr_count:     38
    .sgpr_spill_count: 0
    .symbol:         _ZL20rocblas_tpmvc_kernelILi512EPKdPdS2_EvbbiT0_llT1_lllT2_li.kd
    .uniform_work_group_size: 1
    .uses_dynamic_stack: false
    .vgpr_count:     33
    .vgpr_spill_count: 0
    .wavefront_size: 32
    .workgroup_processor_mode: 1
  - .args:
      - .offset:         0
        .size:           1
        .value_kind:     by_value
      - .offset:         1
        .size:           1
        .value_kind:     by_value
      - .offset:         4
        .size:           4
        .value_kind:     by_value
      - .address_space:  global
        .offset:         8
        .size:           8
        .value_kind:     global_buffer
      - .offset:         16
        .size:           8
        .value_kind:     by_value
      - .offset:         24
        .size:           8
        .value_kind:     by_value
      - .address_space:  global
        .offset:         32
        .size:           8
        .value_kind:     global_buffer
      - .offset:         40
        .size:           8
        .value_kind:     by_value
      - .offset:         48
        .size:           8
        .value_kind:     by_value
      - .offset:         56
        .size:           8
        .value_kind:     by_value
      - .address_space:  global
        .offset:         64
        .size:           8
        .value_kind:     global_buffer
      - .offset:         72
        .size:           8
        .value_kind:     by_value
      - .offset:         80
        .size:           4
        .value_kind:     by_value
      - .offset:         88
        .size:           4
        .value_kind:     hidden_block_count_x
      - .offset:         92
        .size:           4
        .value_kind:     hidden_block_count_y
      - .offset:         96
        .size:           4
        .value_kind:     hidden_block_count_z
      - .offset:         100
        .size:           2
        .value_kind:     hidden_group_size_x
      - .offset:         102
        .size:           2
        .value_kind:     hidden_group_size_y
      - .offset:         104
        .size:           2
        .value_kind:     hidden_group_size_z
      - .offset:         106
        .size:           2
        .value_kind:     hidden_remainder_x
      - .offset:         108
        .size:           2
        .value_kind:     hidden_remainder_y
      - .offset:         110
        .size:           2
        .value_kind:     hidden_remainder_z
      - .offset:         128
        .size:           8
        .value_kind:     hidden_global_offset_x
      - .offset:         136
        .size:           8
        .value_kind:     hidden_global_offset_y
      - .offset:         144
        .size:           8
        .value_kind:     hidden_global_offset_z
      - .offset:         152
        .size:           2
        .value_kind:     hidden_grid_dims
    .group_segment_fixed_size: 0
    .kernarg_segment_align: 8
    .kernarg_segment_size: 344
    .language:       OpenCL C
    .language_version:
      - 2
      - 0
    .max_flat_workgroup_size: 512
    .name:           _ZL20rocblas_tpmvn_kernelILi512EPK19rocblas_complex_numIfEPS1_S4_EvbbiT0_llT1_lllT2_li
    .private_segment_fixed_size: 0
    .sgpr_count:     48
    .sgpr_spill_count: 0
    .symbol:         _ZL20rocblas_tpmvn_kernelILi512EPK19rocblas_complex_numIfEPS1_S4_EvbbiT0_llT1_lllT2_li.kd
    .uniform_work_group_size: 1
    .uses_dynamic_stack: false
    .vgpr_count:     34
    .vgpr_spill_count: 0
    .wavefront_size: 32
    .workgroup_processor_mode: 1
  - .args:
      - .offset:         0
        .size:           1
        .value_kind:     by_value
      - .offset:         1
        .size:           1
        .value_kind:     by_value
      - .offset:         4
        .size:           4
        .value_kind:     by_value
      - .address_space:  global
        .offset:         8
        .size:           8
        .value_kind:     global_buffer
      - .offset:         16
        .size:           8
        .value_kind:     by_value
      - .offset:         24
        .size:           8
        .value_kind:     by_value
      - .address_space:  global
        .offset:         32
        .size:           8
        .value_kind:     global_buffer
      - .offset:         40
        .size:           8
        .value_kind:     by_value
      - .offset:         48
        .size:           8
        .value_kind:     by_value
      - .offset:         56
        .size:           8
        .value_kind:     by_value
      - .address_space:  global
        .offset:         64
        .size:           8
        .value_kind:     global_buffer
      - .offset:         72
        .size:           8
        .value_kind:     by_value
      - .offset:         80
        .size:           4
        .value_kind:     by_value
      - .offset:         88
        .size:           4
        .value_kind:     hidden_block_count_x
      - .offset:         92
        .size:           4
        .value_kind:     hidden_block_count_y
      - .offset:         96
        .size:           4
        .value_kind:     hidden_block_count_z
      - .offset:         100
        .size:           2
        .value_kind:     hidden_group_size_x
      - .offset:         102
        .size:           2
        .value_kind:     hidden_group_size_y
      - .offset:         104
        .size:           2
        .value_kind:     hidden_group_size_z
      - .offset:         106
        .size:           2
        .value_kind:     hidden_remainder_x
      - .offset:         108
        .size:           2
        .value_kind:     hidden_remainder_y
      - .offset:         110
        .size:           2
        .value_kind:     hidden_remainder_z
      - .offset:         128
        .size:           8
        .value_kind:     hidden_global_offset_x
      - .offset:         136
        .size:           8
        .value_kind:     hidden_global_offset_y
      - .offset:         144
        .size:           8
        .value_kind:     hidden_global_offset_z
      - .offset:         152
        .size:           2
        .value_kind:     hidden_grid_dims
    .group_segment_fixed_size: 0
    .kernarg_segment_align: 8
    .kernarg_segment_size: 344
    .language:       OpenCL C
    .language_version:
      - 2
      - 0
    .max_flat_workgroup_size: 512
    .name:           _ZL20rocblas_tpmvt_kernelILi512EPK19rocblas_complex_numIfEPS1_S4_EvbbiT0_llT1_lllT2_li
    .private_segment_fixed_size: 0
    .sgpr_count:     40
    .sgpr_spill_count: 0
    .symbol:         _ZL20rocblas_tpmvt_kernelILi512EPK19rocblas_complex_numIfEPS1_S4_EvbbiT0_llT1_lllT2_li.kd
    .uniform_work_group_size: 1
    .uses_dynamic_stack: false
    .vgpr_count:     34
    .vgpr_spill_count: 0
    .wavefront_size: 32
    .workgroup_processor_mode: 1
  - .args:
      - .offset:         0
        .size:           1
        .value_kind:     by_value
      - .offset:         1
        .size:           1
        .value_kind:     by_value
      - .offset:         4
        .size:           4
        .value_kind:     by_value
      - .address_space:  global
        .offset:         8
        .size:           8
        .value_kind:     global_buffer
      - .offset:         16
        .size:           8
        .value_kind:     by_value
      - .offset:         24
        .size:           8
        .value_kind:     by_value
      - .address_space:  global
        .offset:         32
        .size:           8
        .value_kind:     global_buffer
      - .offset:         40
        .size:           8
        .value_kind:     by_value
      - .offset:         48
        .size:           8
        .value_kind:     by_value
      - .offset:         56
        .size:           8
        .value_kind:     by_value
      - .address_space:  global
        .offset:         64
        .size:           8
        .value_kind:     global_buffer
      - .offset:         72
        .size:           8
        .value_kind:     by_value
      - .offset:         80
        .size:           4
        .value_kind:     by_value
      - .offset:         88
        .size:           4
        .value_kind:     hidden_block_count_x
      - .offset:         92
        .size:           4
        .value_kind:     hidden_block_count_y
      - .offset:         96
        .size:           4
        .value_kind:     hidden_block_count_z
      - .offset:         100
        .size:           2
        .value_kind:     hidden_group_size_x
      - .offset:         102
        .size:           2
        .value_kind:     hidden_group_size_y
      - .offset:         104
        .size:           2
        .value_kind:     hidden_group_size_z
      - .offset:         106
        .size:           2
        .value_kind:     hidden_remainder_x
      - .offset:         108
        .size:           2
        .value_kind:     hidden_remainder_y
      - .offset:         110
        .size:           2
        .value_kind:     hidden_remainder_z
      - .offset:         128
        .size:           8
        .value_kind:     hidden_global_offset_x
      - .offset:         136
        .size:           8
        .value_kind:     hidden_global_offset_y
      - .offset:         144
        .size:           8
        .value_kind:     hidden_global_offset_z
      - .offset:         152
        .size:           2
        .value_kind:     hidden_grid_dims
    .group_segment_fixed_size: 0
    .kernarg_segment_align: 8
    .kernarg_segment_size: 344
    .language:       OpenCL C
    .language_version:
      - 2
      - 0
    .max_flat_workgroup_size: 512
    .name:           _ZL20rocblas_tpmvc_kernelILi512EPK19rocblas_complex_numIfEPS1_S4_EvbbiT0_llT1_lllT2_li
    .private_segment_fixed_size: 0
    .sgpr_count:     40
    .sgpr_spill_count: 0
    .symbol:         _ZL20rocblas_tpmvc_kernelILi512EPK19rocblas_complex_numIfEPS1_S4_EvbbiT0_llT1_lllT2_li.kd
    .uniform_work_group_size: 1
    .uses_dynamic_stack: false
    .vgpr_count:     34
    .vgpr_spill_count: 0
    .wavefront_size: 32
    .workgroup_processor_mode: 1
  - .args:
      - .offset:         0
        .size:           1
        .value_kind:     by_value
      - .offset:         1
        .size:           1
        .value_kind:     by_value
      - .offset:         4
        .size:           4
        .value_kind:     by_value
      - .address_space:  global
        .offset:         8
        .size:           8
        .value_kind:     global_buffer
      - .offset:         16
        .size:           8
        .value_kind:     by_value
      - .offset:         24
        .size:           8
        .value_kind:     by_value
      - .address_space:  global
        .offset:         32
        .size:           8
        .value_kind:     global_buffer
      - .offset:         40
        .size:           8
        .value_kind:     by_value
      - .offset:         48
        .size:           8
        .value_kind:     by_value
      - .offset:         56
        .size:           8
        .value_kind:     by_value
      - .address_space:  global
        .offset:         64
        .size:           8
        .value_kind:     global_buffer
      - .offset:         72
        .size:           8
        .value_kind:     by_value
      - .offset:         80
        .size:           4
        .value_kind:     by_value
      - .offset:         88
        .size:           4
        .value_kind:     hidden_block_count_x
      - .offset:         92
        .size:           4
        .value_kind:     hidden_block_count_y
      - .offset:         96
        .size:           4
        .value_kind:     hidden_block_count_z
      - .offset:         100
        .size:           2
        .value_kind:     hidden_group_size_x
      - .offset:         102
        .size:           2
        .value_kind:     hidden_group_size_y
      - .offset:         104
        .size:           2
        .value_kind:     hidden_group_size_z
      - .offset:         106
        .size:           2
        .value_kind:     hidden_remainder_x
      - .offset:         108
        .size:           2
        .value_kind:     hidden_remainder_y
      - .offset:         110
        .size:           2
        .value_kind:     hidden_remainder_z
      - .offset:         128
        .size:           8
        .value_kind:     hidden_global_offset_x
      - .offset:         136
        .size:           8
        .value_kind:     hidden_global_offset_y
      - .offset:         144
        .size:           8
        .value_kind:     hidden_global_offset_z
      - .offset:         152
        .size:           2
        .value_kind:     hidden_grid_dims
    .group_segment_fixed_size: 0
    .kernarg_segment_align: 8
    .kernarg_segment_size: 344
    .language:       OpenCL C
    .language_version:
      - 2
      - 0
    .max_flat_workgroup_size: 512
    .name:           _ZL20rocblas_tpmvn_kernelILi512EPK19rocblas_complex_numIdEPS1_S4_EvbbiT0_llT1_lllT2_li
    .private_segment_fixed_size: 0
    .sgpr_count:     48
    .sgpr_spill_count: 0
    .symbol:         _ZL20rocblas_tpmvn_kernelILi512EPK19rocblas_complex_numIdEPS1_S4_EvbbiT0_llT1_lllT2_li.kd
    .uniform_work_group_size: 1
    .uses_dynamic_stack: false
    .vgpr_count:     41
    .vgpr_spill_count: 0
    .wavefront_size: 32
    .workgroup_processor_mode: 1
  - .args:
      - .offset:         0
        .size:           1
        .value_kind:     by_value
      - .offset:         1
        .size:           1
        .value_kind:     by_value
      - .offset:         4
        .size:           4
        .value_kind:     by_value
      - .address_space:  global
        .offset:         8
        .size:           8
        .value_kind:     global_buffer
      - .offset:         16
        .size:           8
        .value_kind:     by_value
      - .offset:         24
        .size:           8
        .value_kind:     by_value
      - .address_space:  global
        .offset:         32
        .size:           8
        .value_kind:     global_buffer
      - .offset:         40
        .size:           8
        .value_kind:     by_value
      - .offset:         48
        .size:           8
        .value_kind:     by_value
      - .offset:         56
        .size:           8
        .value_kind:     by_value
      - .address_space:  global
        .offset:         64
        .size:           8
        .value_kind:     global_buffer
      - .offset:         72
        .size:           8
        .value_kind:     by_value
      - .offset:         80
        .size:           4
        .value_kind:     by_value
      - .offset:         88
        .size:           4
        .value_kind:     hidden_block_count_x
      - .offset:         92
        .size:           4
        .value_kind:     hidden_block_count_y
      - .offset:         96
        .size:           4
        .value_kind:     hidden_block_count_z
      - .offset:         100
        .size:           2
        .value_kind:     hidden_group_size_x
      - .offset:         102
        .size:           2
        .value_kind:     hidden_group_size_y
      - .offset:         104
        .size:           2
        .value_kind:     hidden_group_size_z
      - .offset:         106
        .size:           2
        .value_kind:     hidden_remainder_x
      - .offset:         108
        .size:           2
        .value_kind:     hidden_remainder_y
      - .offset:         110
        .size:           2
        .value_kind:     hidden_remainder_z
      - .offset:         128
        .size:           8
        .value_kind:     hidden_global_offset_x
      - .offset:         136
        .size:           8
        .value_kind:     hidden_global_offset_y
      - .offset:         144
        .size:           8
        .value_kind:     hidden_global_offset_z
      - .offset:         152
        .size:           2
        .value_kind:     hidden_grid_dims
    .group_segment_fixed_size: 0
    .kernarg_segment_align: 8
    .kernarg_segment_size: 344
    .language:       OpenCL C
    .language_version:
      - 2
      - 0
    .max_flat_workgroup_size: 512
    .name:           _ZL20rocblas_tpmvt_kernelILi512EPK19rocblas_complex_numIdEPS1_S4_EvbbiT0_llT1_lllT2_li
    .private_segment_fixed_size: 0
    .sgpr_count:     40
    .sgpr_spill_count: 0
    .symbol:         _ZL20rocblas_tpmvt_kernelILi512EPK19rocblas_complex_numIdEPS1_S4_EvbbiT0_llT1_lllT2_li.kd
    .uniform_work_group_size: 1
    .uses_dynamic_stack: false
    .vgpr_count:     43
    .vgpr_spill_count: 0
    .wavefront_size: 32
    .workgroup_processor_mode: 1
  - .args:
      - .offset:         0
        .size:           1
        .value_kind:     by_value
      - .offset:         1
        .size:           1
        .value_kind:     by_value
      - .offset:         4
        .size:           4
        .value_kind:     by_value
      - .address_space:  global
        .offset:         8
        .size:           8
        .value_kind:     global_buffer
      - .offset:         16
        .size:           8
        .value_kind:     by_value
      - .offset:         24
        .size:           8
        .value_kind:     by_value
      - .address_space:  global
        .offset:         32
        .size:           8
        .value_kind:     global_buffer
      - .offset:         40
        .size:           8
        .value_kind:     by_value
      - .offset:         48
        .size:           8
        .value_kind:     by_value
      - .offset:         56
        .size:           8
        .value_kind:     by_value
      - .address_space:  global
        .offset:         64
        .size:           8
        .value_kind:     global_buffer
      - .offset:         72
        .size:           8
        .value_kind:     by_value
      - .offset:         80
        .size:           4
        .value_kind:     by_value
      - .offset:         88
        .size:           4
        .value_kind:     hidden_block_count_x
      - .offset:         92
        .size:           4
        .value_kind:     hidden_block_count_y
      - .offset:         96
        .size:           4
        .value_kind:     hidden_block_count_z
      - .offset:         100
        .size:           2
        .value_kind:     hidden_group_size_x
      - .offset:         102
        .size:           2
        .value_kind:     hidden_group_size_y
      - .offset:         104
        .size:           2
        .value_kind:     hidden_group_size_z
      - .offset:         106
        .size:           2
        .value_kind:     hidden_remainder_x
      - .offset:         108
        .size:           2
        .value_kind:     hidden_remainder_y
      - .offset:         110
        .size:           2
        .value_kind:     hidden_remainder_z
      - .offset:         128
        .size:           8
        .value_kind:     hidden_global_offset_x
      - .offset:         136
        .size:           8
        .value_kind:     hidden_global_offset_y
      - .offset:         144
        .size:           8
        .value_kind:     hidden_global_offset_z
      - .offset:         152
        .size:           2
        .value_kind:     hidden_grid_dims
    .group_segment_fixed_size: 0
    .kernarg_segment_align: 8
    .kernarg_segment_size: 344
    .language:       OpenCL C
    .language_version:
      - 2
      - 0
    .max_flat_workgroup_size: 512
    .name:           _ZL20rocblas_tpmvc_kernelILi512EPK19rocblas_complex_numIdEPS1_S4_EvbbiT0_llT1_lllT2_li
    .private_segment_fixed_size: 0
    .sgpr_count:     40
    .sgpr_spill_count: 0
    .symbol:         _ZL20rocblas_tpmvc_kernelILi512EPK19rocblas_complex_numIdEPS1_S4_EvbbiT0_llT1_lllT2_li.kd
    .uniform_work_group_size: 1
    .uses_dynamic_stack: false
    .vgpr_count:     43
    .vgpr_spill_count: 0
    .wavefront_size: 32
    .workgroup_processor_mode: 1
  - .args:
      - .offset:         0
        .size:           1
        .value_kind:     by_value
      - .offset:         1
        .size:           1
        .value_kind:     by_value
      - .offset:         4
        .size:           4
        .value_kind:     by_value
      - .address_space:  global
        .offset:         8
        .size:           8
        .value_kind:     global_buffer
      - .offset:         16
        .size:           8
        .value_kind:     by_value
      - .offset:         24
        .size:           8
        .value_kind:     by_value
      - .address_space:  global
        .offset:         32
        .size:           8
        .value_kind:     global_buffer
      - .offset:         40
        .size:           8
        .value_kind:     by_value
      - .offset:         48
        .size:           8
        .value_kind:     by_value
      - .offset:         56
        .size:           8
        .value_kind:     by_value
      - .address_space:  global
        .offset:         64
        .size:           8
        .value_kind:     global_buffer
      - .offset:         72
        .size:           8
        .value_kind:     by_value
      - .offset:         80
        .size:           4
        .value_kind:     by_value
      - .offset:         88
        .size:           4
        .value_kind:     hidden_block_count_x
      - .offset:         92
        .size:           4
        .value_kind:     hidden_block_count_y
      - .offset:         96
        .size:           4
        .value_kind:     hidden_block_count_z
      - .offset:         100
        .size:           2
        .value_kind:     hidden_group_size_x
      - .offset:         102
        .size:           2
        .value_kind:     hidden_group_size_y
      - .offset:         104
        .size:           2
        .value_kind:     hidden_group_size_z
      - .offset:         106
        .size:           2
        .value_kind:     hidden_remainder_x
      - .offset:         108
        .size:           2
        .value_kind:     hidden_remainder_y
      - .offset:         110
        .size:           2
        .value_kind:     hidden_remainder_z
      - .offset:         128
        .size:           8
        .value_kind:     hidden_global_offset_x
      - .offset:         136
        .size:           8
        .value_kind:     hidden_global_offset_y
      - .offset:         144
        .size:           8
        .value_kind:     hidden_global_offset_z
      - .offset:         152
        .size:           2
        .value_kind:     hidden_grid_dims
    .group_segment_fixed_size: 0
    .kernarg_segment_align: 8
    .kernarg_segment_size: 344
    .language:       OpenCL C
    .language_version:
      - 2
      - 0
    .max_flat_workgroup_size: 512
    .name:           _ZL20rocblas_tpmvn_kernelILi512EPKPKfPKPfS4_EvbbiT0_llT1_lllT2_li
    .private_segment_fixed_size: 0
    .sgpr_count:     44
    .sgpr_spill_count: 0
    .symbol:         _ZL20rocblas_tpmvn_kernelILi512EPKPKfPKPfS4_EvbbiT0_llT1_lllT2_li.kd
    .uniform_work_group_size: 1
    .uses_dynamic_stack: false
    .vgpr_count:     31
    .vgpr_spill_count: 0
    .wavefront_size: 32
    .workgroup_processor_mode: 1
  - .args:
      - .offset:         0
        .size:           1
        .value_kind:     by_value
      - .offset:         1
        .size:           1
        .value_kind:     by_value
      - .offset:         4
        .size:           4
        .value_kind:     by_value
      - .address_space:  global
        .offset:         8
        .size:           8
        .value_kind:     global_buffer
      - .offset:         16
        .size:           8
        .value_kind:     by_value
      - .offset:         24
        .size:           8
        .value_kind:     by_value
      - .address_space:  global
        .offset:         32
        .size:           8
        .value_kind:     global_buffer
      - .offset:         40
        .size:           8
        .value_kind:     by_value
      - .offset:         48
        .size:           8
        .value_kind:     by_value
      - .offset:         56
        .size:           8
        .value_kind:     by_value
      - .address_space:  global
        .offset:         64
        .size:           8
        .value_kind:     global_buffer
      - .offset:         72
        .size:           8
        .value_kind:     by_value
      - .offset:         80
        .size:           4
        .value_kind:     by_value
      - .offset:         88
        .size:           4
        .value_kind:     hidden_block_count_x
      - .offset:         92
        .size:           4
        .value_kind:     hidden_block_count_y
      - .offset:         96
        .size:           4
        .value_kind:     hidden_block_count_z
      - .offset:         100
        .size:           2
        .value_kind:     hidden_group_size_x
      - .offset:         102
        .size:           2
        .value_kind:     hidden_group_size_y
      - .offset:         104
        .size:           2
        .value_kind:     hidden_group_size_z
      - .offset:         106
        .size:           2
        .value_kind:     hidden_remainder_x
      - .offset:         108
        .size:           2
        .value_kind:     hidden_remainder_y
      - .offset:         110
        .size:           2
        .value_kind:     hidden_remainder_z
      - .offset:         128
        .size:           8
        .value_kind:     hidden_global_offset_x
      - .offset:         136
        .size:           8
        .value_kind:     hidden_global_offset_y
      - .offset:         144
        .size:           8
        .value_kind:     hidden_global_offset_z
      - .offset:         152
        .size:           2
        .value_kind:     hidden_grid_dims
    .group_segment_fixed_size: 0
    .kernarg_segment_align: 8
    .kernarg_segment_size: 344
    .language:       OpenCL C
    .language_version:
      - 2
      - 0
    .max_flat_workgroup_size: 512
    .name:           _ZL20rocblas_tpmvt_kernelILi512EPKPKfPKPfS4_EvbbiT0_llT1_lllT2_li
    .private_segment_fixed_size: 0
    .sgpr_count:     34
    .sgpr_spill_count: 0
    .symbol:         _ZL20rocblas_tpmvt_kernelILi512EPKPKfPKPfS4_EvbbiT0_llT1_lllT2_li.kd
    .uniform_work_group_size: 1
    .uses_dynamic_stack: false
    .vgpr_count:     28
    .vgpr_spill_count: 0
    .wavefront_size: 32
    .workgroup_processor_mode: 1
  - .args:
      - .offset:         0
        .size:           1
        .value_kind:     by_value
      - .offset:         1
        .size:           1
        .value_kind:     by_value
      - .offset:         4
        .size:           4
        .value_kind:     by_value
      - .address_space:  global
        .offset:         8
        .size:           8
        .value_kind:     global_buffer
      - .offset:         16
        .size:           8
        .value_kind:     by_value
      - .offset:         24
        .size:           8
        .value_kind:     by_value
      - .address_space:  global
        .offset:         32
        .size:           8
        .value_kind:     global_buffer
      - .offset:         40
        .size:           8
        .value_kind:     by_value
      - .offset:         48
        .size:           8
        .value_kind:     by_value
      - .offset:         56
        .size:           8
        .value_kind:     by_value
      - .address_space:  global
        .offset:         64
        .size:           8
        .value_kind:     global_buffer
      - .offset:         72
        .size:           8
        .value_kind:     by_value
      - .offset:         80
        .size:           4
        .value_kind:     by_value
      - .offset:         88
        .size:           4
        .value_kind:     hidden_block_count_x
      - .offset:         92
        .size:           4
        .value_kind:     hidden_block_count_y
      - .offset:         96
        .size:           4
        .value_kind:     hidden_block_count_z
      - .offset:         100
        .size:           2
        .value_kind:     hidden_group_size_x
      - .offset:         102
        .size:           2
        .value_kind:     hidden_group_size_y
      - .offset:         104
        .size:           2
        .value_kind:     hidden_group_size_z
      - .offset:         106
        .size:           2
        .value_kind:     hidden_remainder_x
      - .offset:         108
        .size:           2
        .value_kind:     hidden_remainder_y
      - .offset:         110
        .size:           2
        .value_kind:     hidden_remainder_z
      - .offset:         128
        .size:           8
        .value_kind:     hidden_global_offset_x
      - .offset:         136
        .size:           8
        .value_kind:     hidden_global_offset_y
      - .offset:         144
        .size:           8
        .value_kind:     hidden_global_offset_z
      - .offset:         152
        .size:           2
        .value_kind:     hidden_grid_dims
    .group_segment_fixed_size: 0
    .kernarg_segment_align: 8
    .kernarg_segment_size: 344
    .language:       OpenCL C
    .language_version:
      - 2
      - 0
    .max_flat_workgroup_size: 512
    .name:           _ZL20rocblas_tpmvc_kernelILi512EPKPKfPKPfS4_EvbbiT0_llT1_lllT2_li
    .private_segment_fixed_size: 0
    .sgpr_count:     34
    .sgpr_spill_count: 0
    .symbol:         _ZL20rocblas_tpmvc_kernelILi512EPKPKfPKPfS4_EvbbiT0_llT1_lllT2_li.kd
    .uniform_work_group_size: 1
    .uses_dynamic_stack: false
    .vgpr_count:     28
    .vgpr_spill_count: 0
    .wavefront_size: 32
    .workgroup_processor_mode: 1
  - .args:
      - .offset:         0
        .size:           1
        .value_kind:     by_value
      - .offset:         1
        .size:           1
        .value_kind:     by_value
      - .offset:         4
        .size:           4
        .value_kind:     by_value
      - .address_space:  global
        .offset:         8
        .size:           8
        .value_kind:     global_buffer
      - .offset:         16
        .size:           8
        .value_kind:     by_value
      - .offset:         24
        .size:           8
        .value_kind:     by_value
      - .address_space:  global
        .offset:         32
        .size:           8
        .value_kind:     global_buffer
      - .offset:         40
        .size:           8
        .value_kind:     by_value
      - .offset:         48
        .size:           8
        .value_kind:     by_value
      - .offset:         56
        .size:           8
        .value_kind:     by_value
      - .address_space:  global
        .offset:         64
        .size:           8
        .value_kind:     global_buffer
      - .offset:         72
        .size:           8
        .value_kind:     by_value
      - .offset:         80
        .size:           4
        .value_kind:     by_value
      - .offset:         88
        .size:           4
        .value_kind:     hidden_block_count_x
      - .offset:         92
        .size:           4
        .value_kind:     hidden_block_count_y
      - .offset:         96
        .size:           4
        .value_kind:     hidden_block_count_z
      - .offset:         100
        .size:           2
        .value_kind:     hidden_group_size_x
      - .offset:         102
        .size:           2
        .value_kind:     hidden_group_size_y
      - .offset:         104
        .size:           2
        .value_kind:     hidden_group_size_z
      - .offset:         106
        .size:           2
        .value_kind:     hidden_remainder_x
      - .offset:         108
        .size:           2
        .value_kind:     hidden_remainder_y
      - .offset:         110
        .size:           2
        .value_kind:     hidden_remainder_z
      - .offset:         128
        .size:           8
        .value_kind:     hidden_global_offset_x
      - .offset:         136
        .size:           8
        .value_kind:     hidden_global_offset_y
      - .offset:         144
        .size:           8
        .value_kind:     hidden_global_offset_z
      - .offset:         152
        .size:           2
        .value_kind:     hidden_grid_dims
    .group_segment_fixed_size: 0
    .kernarg_segment_align: 8
    .kernarg_segment_size: 344
    .language:       OpenCL C
    .language_version:
      - 2
      - 0
    .max_flat_workgroup_size: 512
    .name:           _ZL20rocblas_tpmvn_kernelILi512EPKPKdPKPdS4_EvbbiT0_llT1_lllT2_li
    .private_segment_fixed_size: 0
    .sgpr_count:     44
    .sgpr_spill_count: 0
    .symbol:         _ZL20rocblas_tpmvn_kernelILi512EPKPKdPKPdS4_EvbbiT0_llT1_lllT2_li.kd
    .uniform_work_group_size: 1
    .uses_dynamic_stack: false
    .vgpr_count:     32
    .vgpr_spill_count: 0
    .wavefront_size: 32
    .workgroup_processor_mode: 1
  - .args:
      - .offset:         0
        .size:           1
        .value_kind:     by_value
      - .offset:         1
        .size:           1
        .value_kind:     by_value
      - .offset:         4
        .size:           4
        .value_kind:     by_value
      - .address_space:  global
        .offset:         8
        .size:           8
        .value_kind:     global_buffer
      - .offset:         16
        .size:           8
        .value_kind:     by_value
      - .offset:         24
        .size:           8
        .value_kind:     by_value
      - .address_space:  global
        .offset:         32
        .size:           8
        .value_kind:     global_buffer
      - .offset:         40
        .size:           8
        .value_kind:     by_value
      - .offset:         48
        .size:           8
        .value_kind:     by_value
      - .offset:         56
        .size:           8
        .value_kind:     by_value
      - .address_space:  global
        .offset:         64
        .size:           8
        .value_kind:     global_buffer
      - .offset:         72
        .size:           8
        .value_kind:     by_value
      - .offset:         80
        .size:           4
        .value_kind:     by_value
      - .offset:         88
        .size:           4
        .value_kind:     hidden_block_count_x
      - .offset:         92
        .size:           4
        .value_kind:     hidden_block_count_y
      - .offset:         96
        .size:           4
        .value_kind:     hidden_block_count_z
      - .offset:         100
        .size:           2
        .value_kind:     hidden_group_size_x
      - .offset:         102
        .size:           2
        .value_kind:     hidden_group_size_y
      - .offset:         104
        .size:           2
        .value_kind:     hidden_group_size_z
      - .offset:         106
        .size:           2
        .value_kind:     hidden_remainder_x
      - .offset:         108
        .size:           2
        .value_kind:     hidden_remainder_y
      - .offset:         110
        .size:           2
        .value_kind:     hidden_remainder_z
      - .offset:         128
        .size:           8
        .value_kind:     hidden_global_offset_x
      - .offset:         136
        .size:           8
        .value_kind:     hidden_global_offset_y
      - .offset:         144
        .size:           8
        .value_kind:     hidden_global_offset_z
      - .offset:         152
        .size:           2
        .value_kind:     hidden_grid_dims
    .group_segment_fixed_size: 0
    .kernarg_segment_align: 8
    .kernarg_segment_size: 344
    .language:       OpenCL C
    .language_version:
      - 2
      - 0
    .max_flat_workgroup_size: 512
    .name:           _ZL20rocblas_tpmvt_kernelILi512EPKPKdPKPdS4_EvbbiT0_llT1_lllT2_li
    .private_segment_fixed_size: 0
    .sgpr_count:     34
    .sgpr_spill_count: 0
    .symbol:         _ZL20rocblas_tpmvt_kernelILi512EPKPKdPKPdS4_EvbbiT0_llT1_lllT2_li.kd
    .uniform_work_group_size: 1
    .uses_dynamic_stack: false
    .vgpr_count:     32
    .vgpr_spill_count: 0
    .wavefront_size: 32
    .workgroup_processor_mode: 1
  - .args:
      - .offset:         0
        .size:           1
        .value_kind:     by_value
      - .offset:         1
        .size:           1
        .value_kind:     by_value
      - .offset:         4
        .size:           4
        .value_kind:     by_value
      - .address_space:  global
        .offset:         8
        .size:           8
        .value_kind:     global_buffer
      - .offset:         16
        .size:           8
        .value_kind:     by_value
      - .offset:         24
        .size:           8
        .value_kind:     by_value
      - .address_space:  global
        .offset:         32
        .size:           8
        .value_kind:     global_buffer
      - .offset:         40
        .size:           8
        .value_kind:     by_value
      - .offset:         48
        .size:           8
        .value_kind:     by_value
      - .offset:         56
        .size:           8
        .value_kind:     by_value
      - .address_space:  global
        .offset:         64
        .size:           8
        .value_kind:     global_buffer
      - .offset:         72
        .size:           8
        .value_kind:     by_value
      - .offset:         80
        .size:           4
        .value_kind:     by_value
      - .offset:         88
        .size:           4
        .value_kind:     hidden_block_count_x
      - .offset:         92
        .size:           4
        .value_kind:     hidden_block_count_y
      - .offset:         96
        .size:           4
        .value_kind:     hidden_block_count_z
      - .offset:         100
        .size:           2
        .value_kind:     hidden_group_size_x
      - .offset:         102
        .size:           2
        .value_kind:     hidden_group_size_y
      - .offset:         104
        .size:           2
        .value_kind:     hidden_group_size_z
      - .offset:         106
        .size:           2
        .value_kind:     hidden_remainder_x
      - .offset:         108
        .size:           2
        .value_kind:     hidden_remainder_y
      - .offset:         110
        .size:           2
        .value_kind:     hidden_remainder_z
      - .offset:         128
        .size:           8
        .value_kind:     hidden_global_offset_x
      - .offset:         136
        .size:           8
        .value_kind:     hidden_global_offset_y
      - .offset:         144
        .size:           8
        .value_kind:     hidden_global_offset_z
      - .offset:         152
        .size:           2
        .value_kind:     hidden_grid_dims
    .group_segment_fixed_size: 0
    .kernarg_segment_align: 8
    .kernarg_segment_size: 344
    .language:       OpenCL C
    .language_version:
      - 2
      - 0
    .max_flat_workgroup_size: 512
    .name:           _ZL20rocblas_tpmvc_kernelILi512EPKPKdPKPdS4_EvbbiT0_llT1_lllT2_li
    .private_segment_fixed_size: 0
    .sgpr_count:     34
    .sgpr_spill_count: 0
    .symbol:         _ZL20rocblas_tpmvc_kernelILi512EPKPKdPKPdS4_EvbbiT0_llT1_lllT2_li.kd
    .uniform_work_group_size: 1
    .uses_dynamic_stack: false
    .vgpr_count:     32
    .vgpr_spill_count: 0
    .wavefront_size: 32
    .workgroup_processor_mode: 1
  - .args:
      - .offset:         0
        .size:           1
        .value_kind:     by_value
      - .offset:         1
        .size:           1
        .value_kind:     by_value
      - .offset:         4
        .size:           4
        .value_kind:     by_value
      - .address_space:  global
        .offset:         8
        .size:           8
        .value_kind:     global_buffer
      - .offset:         16
        .size:           8
        .value_kind:     by_value
      - .offset:         24
        .size:           8
        .value_kind:     by_value
      - .address_space:  global
        .offset:         32
        .size:           8
        .value_kind:     global_buffer
      - .offset:         40
        .size:           8
        .value_kind:     by_value
      - .offset:         48
        .size:           8
        .value_kind:     by_value
      - .offset:         56
        .size:           8
        .value_kind:     by_value
      - .address_space:  global
        .offset:         64
        .size:           8
        .value_kind:     global_buffer
      - .offset:         72
        .size:           8
        .value_kind:     by_value
      - .offset:         80
        .size:           4
        .value_kind:     by_value
      - .offset:         88
        .size:           4
        .value_kind:     hidden_block_count_x
      - .offset:         92
        .size:           4
        .value_kind:     hidden_block_count_y
      - .offset:         96
        .size:           4
        .value_kind:     hidden_block_count_z
      - .offset:         100
        .size:           2
        .value_kind:     hidden_group_size_x
      - .offset:         102
        .size:           2
        .value_kind:     hidden_group_size_y
      - .offset:         104
        .size:           2
        .value_kind:     hidden_group_size_z
      - .offset:         106
        .size:           2
        .value_kind:     hidden_remainder_x
      - .offset:         108
        .size:           2
        .value_kind:     hidden_remainder_y
      - .offset:         110
        .size:           2
        .value_kind:     hidden_remainder_z
      - .offset:         128
        .size:           8
        .value_kind:     hidden_global_offset_x
      - .offset:         136
        .size:           8
        .value_kind:     hidden_global_offset_y
      - .offset:         144
        .size:           8
        .value_kind:     hidden_global_offset_z
      - .offset:         152
        .size:           2
        .value_kind:     hidden_grid_dims
    .group_segment_fixed_size: 0
    .kernarg_segment_align: 8
    .kernarg_segment_size: 344
    .language:       OpenCL C
    .language_version:
      - 2
      - 0
    .max_flat_workgroup_size: 512
    .name:           _ZL20rocblas_tpmvn_kernelILi512EPKPK19rocblas_complex_numIfEPKPS1_S6_EvbbiT0_llT1_lllT2_li
    .private_segment_fixed_size: 0
    .sgpr_count:     40
    .sgpr_spill_count: 0
    .symbol:         _ZL20rocblas_tpmvn_kernelILi512EPKPK19rocblas_complex_numIfEPKPS1_S6_EvbbiT0_llT1_lllT2_li.kd
    .uniform_work_group_size: 1
    .uses_dynamic_stack: false
    .vgpr_count:     35
    .vgpr_spill_count: 0
    .wavefront_size: 32
    .workgroup_processor_mode: 1
  - .args:
      - .offset:         0
        .size:           1
        .value_kind:     by_value
      - .offset:         1
        .size:           1
        .value_kind:     by_value
      - .offset:         4
        .size:           4
        .value_kind:     by_value
      - .address_space:  global
        .offset:         8
        .size:           8
        .value_kind:     global_buffer
      - .offset:         16
        .size:           8
        .value_kind:     by_value
      - .offset:         24
        .size:           8
        .value_kind:     by_value
      - .address_space:  global
        .offset:         32
        .size:           8
        .value_kind:     global_buffer
      - .offset:         40
        .size:           8
        .value_kind:     by_value
      - .offset:         48
        .size:           8
        .value_kind:     by_value
      - .offset:         56
        .size:           8
        .value_kind:     by_value
      - .address_space:  global
        .offset:         64
        .size:           8
        .value_kind:     global_buffer
      - .offset:         72
        .size:           8
        .value_kind:     by_value
      - .offset:         80
        .size:           4
        .value_kind:     by_value
      - .offset:         88
        .size:           4
        .value_kind:     hidden_block_count_x
      - .offset:         92
        .size:           4
        .value_kind:     hidden_block_count_y
      - .offset:         96
        .size:           4
        .value_kind:     hidden_block_count_z
      - .offset:         100
        .size:           2
        .value_kind:     hidden_group_size_x
      - .offset:         102
        .size:           2
        .value_kind:     hidden_group_size_y
      - .offset:         104
        .size:           2
        .value_kind:     hidden_group_size_z
      - .offset:         106
        .size:           2
        .value_kind:     hidden_remainder_x
      - .offset:         108
        .size:           2
        .value_kind:     hidden_remainder_y
      - .offset:         110
        .size:           2
        .value_kind:     hidden_remainder_z
      - .offset:         128
        .size:           8
        .value_kind:     hidden_global_offset_x
      - .offset:         136
        .size:           8
        .value_kind:     hidden_global_offset_y
      - .offset:         144
        .size:           8
        .value_kind:     hidden_global_offset_z
      - .offset:         152
        .size:           2
        .value_kind:     hidden_grid_dims
    .group_segment_fixed_size: 0
    .kernarg_segment_align: 8
    .kernarg_segment_size: 344
    .language:       OpenCL C
    .language_version:
      - 2
      - 0
    .max_flat_workgroup_size: 512
    .name:           _ZL20rocblas_tpmvt_kernelILi512EPKPK19rocblas_complex_numIfEPKPS1_S6_EvbbiT0_llT1_lllT2_li
    .private_segment_fixed_size: 0
    .sgpr_count:     32
    .sgpr_spill_count: 0
    .symbol:         _ZL20rocblas_tpmvt_kernelILi512EPKPK19rocblas_complex_numIfEPKPS1_S6_EvbbiT0_llT1_lllT2_li.kd
    .uniform_work_group_size: 1
    .uses_dynamic_stack: false
    .vgpr_count:     38
    .vgpr_spill_count: 0
    .wavefront_size: 32
    .workgroup_processor_mode: 1
  - .args:
      - .offset:         0
        .size:           1
        .value_kind:     by_value
      - .offset:         1
        .size:           1
        .value_kind:     by_value
      - .offset:         4
        .size:           4
        .value_kind:     by_value
      - .address_space:  global
        .offset:         8
        .size:           8
        .value_kind:     global_buffer
      - .offset:         16
        .size:           8
        .value_kind:     by_value
      - .offset:         24
        .size:           8
        .value_kind:     by_value
      - .address_space:  global
        .offset:         32
        .size:           8
        .value_kind:     global_buffer
      - .offset:         40
        .size:           8
        .value_kind:     by_value
      - .offset:         48
        .size:           8
        .value_kind:     by_value
      - .offset:         56
        .size:           8
        .value_kind:     by_value
      - .address_space:  global
        .offset:         64
        .size:           8
        .value_kind:     global_buffer
      - .offset:         72
        .size:           8
        .value_kind:     by_value
      - .offset:         80
        .size:           4
        .value_kind:     by_value
      - .offset:         88
        .size:           4
        .value_kind:     hidden_block_count_x
      - .offset:         92
        .size:           4
        .value_kind:     hidden_block_count_y
      - .offset:         96
        .size:           4
        .value_kind:     hidden_block_count_z
      - .offset:         100
        .size:           2
        .value_kind:     hidden_group_size_x
      - .offset:         102
        .size:           2
        .value_kind:     hidden_group_size_y
      - .offset:         104
        .size:           2
        .value_kind:     hidden_group_size_z
      - .offset:         106
        .size:           2
        .value_kind:     hidden_remainder_x
      - .offset:         108
        .size:           2
        .value_kind:     hidden_remainder_y
      - .offset:         110
        .size:           2
        .value_kind:     hidden_remainder_z
      - .offset:         128
        .size:           8
        .value_kind:     hidden_global_offset_x
      - .offset:         136
        .size:           8
        .value_kind:     hidden_global_offset_y
      - .offset:         144
        .size:           8
        .value_kind:     hidden_global_offset_z
      - .offset:         152
        .size:           2
        .value_kind:     hidden_grid_dims
    .group_segment_fixed_size: 0
    .kernarg_segment_align: 8
    .kernarg_segment_size: 344
    .language:       OpenCL C
    .language_version:
      - 2
      - 0
    .max_flat_workgroup_size: 512
    .name:           _ZL20rocblas_tpmvc_kernelILi512EPKPK19rocblas_complex_numIfEPKPS1_S6_EvbbiT0_llT1_lllT2_li
    .private_segment_fixed_size: 0
    .sgpr_count:     32
    .sgpr_spill_count: 0
    .symbol:         _ZL20rocblas_tpmvc_kernelILi512EPKPK19rocblas_complex_numIfEPKPS1_S6_EvbbiT0_llT1_lllT2_li.kd
    .uniform_work_group_size: 1
    .uses_dynamic_stack: false
    .vgpr_count:     40
    .vgpr_spill_count: 0
    .wavefront_size: 32
    .workgroup_processor_mode: 1
  - .args:
      - .offset:         0
        .size:           1
        .value_kind:     by_value
      - .offset:         1
        .size:           1
        .value_kind:     by_value
      - .offset:         4
        .size:           4
        .value_kind:     by_value
      - .address_space:  global
        .offset:         8
        .size:           8
        .value_kind:     global_buffer
      - .offset:         16
        .size:           8
        .value_kind:     by_value
      - .offset:         24
        .size:           8
        .value_kind:     by_value
      - .address_space:  global
        .offset:         32
        .size:           8
        .value_kind:     global_buffer
      - .offset:         40
        .size:           8
        .value_kind:     by_value
      - .offset:         48
        .size:           8
        .value_kind:     by_value
      - .offset:         56
        .size:           8
        .value_kind:     by_value
      - .address_space:  global
        .offset:         64
        .size:           8
        .value_kind:     global_buffer
      - .offset:         72
        .size:           8
        .value_kind:     by_value
      - .offset:         80
        .size:           4
        .value_kind:     by_value
      - .offset:         88
        .size:           4
        .value_kind:     hidden_block_count_x
      - .offset:         92
        .size:           4
        .value_kind:     hidden_block_count_y
      - .offset:         96
        .size:           4
        .value_kind:     hidden_block_count_z
      - .offset:         100
        .size:           2
        .value_kind:     hidden_group_size_x
      - .offset:         102
        .size:           2
        .value_kind:     hidden_group_size_y
      - .offset:         104
        .size:           2
        .value_kind:     hidden_group_size_z
      - .offset:         106
        .size:           2
        .value_kind:     hidden_remainder_x
      - .offset:         108
        .size:           2
        .value_kind:     hidden_remainder_y
      - .offset:         110
        .size:           2
        .value_kind:     hidden_remainder_z
      - .offset:         128
        .size:           8
        .value_kind:     hidden_global_offset_x
      - .offset:         136
        .size:           8
        .value_kind:     hidden_global_offset_y
      - .offset:         144
        .size:           8
        .value_kind:     hidden_global_offset_z
      - .offset:         152
        .size:           2
        .value_kind:     hidden_grid_dims
    .group_segment_fixed_size: 0
    .kernarg_segment_align: 8
    .kernarg_segment_size: 344
    .language:       OpenCL C
    .language_version:
      - 2
      - 0
    .max_flat_workgroup_size: 512
    .name:           _ZL20rocblas_tpmvn_kernelILi512EPKPK19rocblas_complex_numIdEPKPS1_S6_EvbbiT0_llT1_lllT2_li
    .private_segment_fixed_size: 0
    .sgpr_count:     46
    .sgpr_spill_count: 0
    .symbol:         _ZL20rocblas_tpmvn_kernelILi512EPKPK19rocblas_complex_numIdEPKPS1_S6_EvbbiT0_llT1_lllT2_li.kd
    .uniform_work_group_size: 1
    .uses_dynamic_stack: false
    .vgpr_count:     40
    .vgpr_spill_count: 0
    .wavefront_size: 32
    .workgroup_processor_mode: 1
  - .args:
      - .offset:         0
        .size:           1
        .value_kind:     by_value
      - .offset:         1
        .size:           1
        .value_kind:     by_value
      - .offset:         4
        .size:           4
        .value_kind:     by_value
      - .address_space:  global
        .offset:         8
        .size:           8
        .value_kind:     global_buffer
      - .offset:         16
        .size:           8
        .value_kind:     by_value
      - .offset:         24
        .size:           8
        .value_kind:     by_value
      - .address_space:  global
        .offset:         32
        .size:           8
        .value_kind:     global_buffer
      - .offset:         40
        .size:           8
        .value_kind:     by_value
      - .offset:         48
        .size:           8
        .value_kind:     by_value
      - .offset:         56
        .size:           8
        .value_kind:     by_value
      - .address_space:  global
        .offset:         64
        .size:           8
        .value_kind:     global_buffer
      - .offset:         72
        .size:           8
        .value_kind:     by_value
      - .offset:         80
        .size:           4
        .value_kind:     by_value
      - .offset:         88
        .size:           4
        .value_kind:     hidden_block_count_x
      - .offset:         92
        .size:           4
        .value_kind:     hidden_block_count_y
      - .offset:         96
        .size:           4
        .value_kind:     hidden_block_count_z
      - .offset:         100
        .size:           2
        .value_kind:     hidden_group_size_x
      - .offset:         102
        .size:           2
        .value_kind:     hidden_group_size_y
      - .offset:         104
        .size:           2
        .value_kind:     hidden_group_size_z
      - .offset:         106
        .size:           2
        .value_kind:     hidden_remainder_x
      - .offset:         108
        .size:           2
        .value_kind:     hidden_remainder_y
      - .offset:         110
        .size:           2
        .value_kind:     hidden_remainder_z
      - .offset:         128
        .size:           8
        .value_kind:     hidden_global_offset_x
      - .offset:         136
        .size:           8
        .value_kind:     hidden_global_offset_y
      - .offset:         144
        .size:           8
        .value_kind:     hidden_global_offset_z
      - .offset:         152
        .size:           2
        .value_kind:     hidden_grid_dims
    .group_segment_fixed_size: 0
    .kernarg_segment_align: 8
    .kernarg_segment_size: 344
    .language:       OpenCL C
    .language_version:
      - 2
      - 0
    .max_flat_workgroup_size: 512
    .name:           _ZL20rocblas_tpmvt_kernelILi512EPKPK19rocblas_complex_numIdEPKPS1_S6_EvbbiT0_llT1_lllT2_li
    .private_segment_fixed_size: 0
    .sgpr_count:     36
    .sgpr_spill_count: 0
    .symbol:         _ZL20rocblas_tpmvt_kernelILi512EPKPK19rocblas_complex_numIdEPKPS1_S6_EvbbiT0_llT1_lllT2_li.kd
    .uniform_work_group_size: 1
    .uses_dynamic_stack: false
    .vgpr_count:     42
    .vgpr_spill_count: 0
    .wavefront_size: 32
    .workgroup_processor_mode: 1
  - .args:
      - .offset:         0
        .size:           1
        .value_kind:     by_value
      - .offset:         1
        .size:           1
        .value_kind:     by_value
      - .offset:         4
        .size:           4
        .value_kind:     by_value
      - .address_space:  global
        .offset:         8
        .size:           8
        .value_kind:     global_buffer
      - .offset:         16
        .size:           8
        .value_kind:     by_value
      - .offset:         24
        .size:           8
        .value_kind:     by_value
      - .address_space:  global
        .offset:         32
        .size:           8
        .value_kind:     global_buffer
      - .offset:         40
        .size:           8
        .value_kind:     by_value
      - .offset:         48
        .size:           8
        .value_kind:     by_value
      - .offset:         56
        .size:           8
        .value_kind:     by_value
      - .address_space:  global
        .offset:         64
        .size:           8
        .value_kind:     global_buffer
      - .offset:         72
        .size:           8
        .value_kind:     by_value
      - .offset:         80
        .size:           4
        .value_kind:     by_value
      - .offset:         88
        .size:           4
        .value_kind:     hidden_block_count_x
      - .offset:         92
        .size:           4
        .value_kind:     hidden_block_count_y
      - .offset:         96
        .size:           4
        .value_kind:     hidden_block_count_z
      - .offset:         100
        .size:           2
        .value_kind:     hidden_group_size_x
      - .offset:         102
        .size:           2
        .value_kind:     hidden_group_size_y
      - .offset:         104
        .size:           2
        .value_kind:     hidden_group_size_z
      - .offset:         106
        .size:           2
        .value_kind:     hidden_remainder_x
      - .offset:         108
        .size:           2
        .value_kind:     hidden_remainder_y
      - .offset:         110
        .size:           2
        .value_kind:     hidden_remainder_z
      - .offset:         128
        .size:           8
        .value_kind:     hidden_global_offset_x
      - .offset:         136
        .size:           8
        .value_kind:     hidden_global_offset_y
      - .offset:         144
        .size:           8
        .value_kind:     hidden_global_offset_z
      - .offset:         152
        .size:           2
        .value_kind:     hidden_grid_dims
    .group_segment_fixed_size: 0
    .kernarg_segment_align: 8
    .kernarg_segment_size: 344
    .language:       OpenCL C
    .language_version:
      - 2
      - 0
    .max_flat_workgroup_size: 512
    .name:           _ZL20rocblas_tpmvc_kernelILi512EPKPK19rocblas_complex_numIdEPKPS1_S6_EvbbiT0_llT1_lllT2_li
    .private_segment_fixed_size: 0
    .sgpr_count:     36
    .sgpr_spill_count: 0
    .symbol:         _ZL20rocblas_tpmvc_kernelILi512EPKPK19rocblas_complex_numIdEPKPS1_S6_EvbbiT0_llT1_lllT2_li.kd
    .uniform_work_group_size: 1
    .uses_dynamic_stack: false
    .vgpr_count:     42
    .vgpr_spill_count: 0
    .wavefront_size: 32
    .workgroup_processor_mode: 1
amdhsa.target:   amdgcn-amd-amdhsa--gfx1201
amdhsa.version:
  - 1
  - 2
...

	.end_amdgpu_metadata
